;; amdgpu-corpus repo=ROCm/aiter kind=harvested arch=n/a opt=n/a

/root/src/amdgpu-assembly/repos/ROCm__aiter/hsa/gfx950/fmoe_2stages/fmoe_stage1_bf16_pertokenFp8_doweight_g1u1_96x128_pf2.co:	file format elf64-amdgpu

Disassembly of section .text:

0000000000002a00 <_ZN5aiter53fmoe_stage1_bf16_pertokenFp8_doweight_g1u1_96x128_pf2E>:
	s_and_b32 s1, s1, 0xffff                                   // 000000002A00: 8601FF01 0000FFFF
	s_load_dwordx2 s[8:9], s[0:1], 0x0                         // 000000002A08: C0060200 00000000
	s_load_dwordx2 s[20:21], s[0:1], 0x10                      // 000000002A10: C0060500 00000010
	s_load_dwordx2 s[24:25], s[0:1], 0x20                      // 000000002A18: C0060600 00000020
	s_load_dwordx2 s[48:49], s[0:1], 0x30                      // 000000002A20: C0060C00 00000030
	s_load_dwordx2 s[28:29], s[0:1], 0x40                      // 000000002A28: C0060700 00000040
	s_load_dwordx2 s[32:33], s[0:1], 0x50                      // 000000002A30: C0060800 00000050
	s_load_dwordx2 s[36:37], s[0:1], 0x60                      // 000000002A38: C0060900 00000060
	s_load_dwordx2 s[12:13], s[0:1], 0x70                      // 000000002A40: C0060300 00000070
	s_load_dwordx2 s[44:45], s[0:1], 0x80                      // 000000002A48: C0060B00 00000080
	s_mov_b32 s89, 0                                           // 000000002A50: BED90080
	s_load_dword s64, s[0:1], 0x90                             // 000000002A54: C0021000 00000090
	s_load_dword s65, s[0:1], 0xa0                             // 000000002A5C: C0021040 000000A0
	s_load_dword s66, s[0:1], 0xb0                             // 000000002A64: C0021080 000000B0
	s_load_dword s67, s[0:1], 0xc0                             // 000000002A6C: C00210C0 000000C0
	s_load_dword s68, s[0:1], 0xd0                             // 000000002A74: C0021100 000000D0
	s_load_dword s69, s[0:1], 0xe0                             // 000000002A7C: C0021140 000000E0
	s_load_dword s71, s[0:1], 0xf0                             // 000000002A84: C00211C0 000000F0
	s_load_dword s72, s[0:1], 0x100                            // 000000002A8C: C0021200 00000100
	s_load_dword s74, s[0:1], 0x110                            // 000000002A94: C0021280 00000110
	s_load_dword s76, s[0:1], 0x120                            // 000000002A9C: C0021300 00000120
	s_load_dword s56, s[0:1], 0x130                            // 000000002AA4: C0020E00 00000130
	s_load_dword s88, s[0:1], 0x140                            // 000000002AAC: C0021600 00000140
	s_load_dword s89, s[0:1], 0x150                            // 000000002AB4: C0021640 00000150
	s_load_dwordx2 s[40:41], s[0:1], 0x160                     // 000000002ABC: C0060A00 00000160
	v_lshrrev_b32_e32 v1, 10, v0                               // 000000002AC4: 2002008A
	v_lshrrev_b32_e32 v2, 10, v1                               // 000000002AC8: 2004028A
	v_and_b32_e32 v2, 0x3ff, v2                                // 000000002ACC: 260404FF 000003FF
	v_and_b32_e32 v1, 0x3ff, v1                                // 000000002AD4: 260202FF 000003FF
	v_and_b32_e32 v0, 0x3ff, v0                                // 000000002ADC: 260000FF 000003FF
	v_lshrrev_b32_e32 v3, 6, v0                                // 000000002AE4: 20060086
	v_and_b32_e32 v0, 63, v0                                   // 000000002AE8: 260000BF
	s_mov_b32 s2, s2                                           // 000000002AEC: BE820002
	s_mov_b32 s3, s3                                           // 000000002AF0: BE830003
	s_mov_b32 s4, s4                                           // 000000002AF4: BE840004
	v_readfirstlane_b32 s7, v3                                 // 000000002AF8: 7E0E0503
	s_waitcnt lgkmcnt(0)                                       // 000000002AFC: BF8CC07F
	s_and_b32 s49, s49, 0xffff                                 // 000000002B00: 8631FF31 0000FFFF
	s_load_dword s48, s[48:49], 0x0                            // 000000002B08: C0020C18 00000000
	s_and_b32 s45, s45, 0xffff                                 // 000000002B10: 862DFF2D 0000FFFF
	s_and_b32 s9, s9, 0xffff                                   // 000000002B18: 8609FF09 0000FFFF
	s_mul_i32 s60, s66, s68                                    // 000000002B20: 923C4442
	s_mul_i32 s61, s66, 4                                      // 000000002B24: 923D8442
	s_mov_b32 s22, s60                                         // 000000002B28: BE96003C
	s_mov_b32 s26, -16                                         // 000000002B2C: BE9A00D0
	s_mov_b32 s30, s61                                         // 000000002B30: BE9E003D
	s_mov_b32 s14, 0x180                                       // 000000002B34: BE8E00FF 00000180
	s_mov_b32 s38, -16                                         // 000000002B3C: BEA600D0
	s_mov_b32 s10, -16                                         // 000000002B40: BE8A00D0
	s_mov_b32 s34, 0x200                                       // 000000002B44: BEA200FF 00000200
	s_mov_b32 s23, 0x20000                                     // 000000002B4C: BE9700FF 00020000
	s_mov_b32 s27, 0x20000                                     // 000000002B54: BE9B00FF 00020000
	s_mov_b32 s31, 0x20000                                     // 000000002B5C: BE9F00FF 00020000
	s_mov_b32 s35, 0x20000                                     // 000000002B64: BEA300FF 00020000
	s_mov_b32 s15, 0x20000                                     // 000000002B6C: BE8F00FF 00020000
	s_mov_b32 s39, 0x20000                                     // 000000002B74: BEA700FF 00020000
	s_mov_b32 s11, 0x20000                                     // 000000002B7C: BE8B00FF 00020000
	s_and_b32 s21, s21, 0xffff                                 // 000000002B84: 8615FF15 0000FFFF
	s_and_b32 s25, s25, 0xffff                                 // 000000002B8C: 8619FF19 0000FFFF
	s_and_b32 s29, s29, 0xffff                                 // 000000002B94: 861DFF1D 0000FFFF
	s_and_b32 s33, s33, 0xffff                                 // 000000002B9C: 8621FF21 0000FFFF
	s_and_b32 s13, s13, 0xffff                                 // 000000002BA4: 860DFF0D 0000FFFF
	s_and_b32 s37, s37, 0xffff                                 // 000000002BAC: 8625FF25 0000FFFF
	s_or_b32 s21, s21, 0x40000                                 // 000000002BB4: 8715FF15 00040000
	s_or_b32 s25, s25, 0x40000                                 // 000000002BBC: 8719FF19 00040000
	s_or_b32 s29, s29, 0x40000                                 // 000000002BC4: 871DFF1D 00040000
	s_or_b32 s33, s33, 0x40000                                 // 000000002BCC: 8721FF21 00040000
	s_or_b32 s13, s13, 0x40000                                 // 000000002BD4: 870DFF0D 00040000
	s_or_b32 s37, s37, 0x40000                                 // 000000002BDC: 8725FF25 00040000
	s_mov_b32 s42, -16                                         // 000000002BE4: BEAA00D0
	s_mov_b32 s43, 0x20000                                     // 000000002BE8: BEAB00FF 00020000
	s_and_b32 s41, s41, 0xffff                                 // 000000002BF0: 8629FF29 0000FFFF
	s_or_b32 s41, s41, 0x40000                                 // 000000002BF8: 8729FF29 00040000
	v_accvgpr_write_b32 a127, 0                                // 000000002C00: D3D9407F 18000080
	v_mov_b32_e32 v169, 0                                      // 000000002C08: 7F520280
	s_waitcnt lgkmcnt(0)                                       // 000000002C0C: BF8CC07F
	s_mul_i32 s60, s3, 0x60                                    // 000000002C10: 923CFF03 00000060
	s_cmp_lt_i32 s60, s48                                      // 000000002C18: BF04303C
	s_cbranch_scc0 label_2486                                  // 000000002C1C: BF8423FB
	s_mov_b32 s80, 0                                           // 000000002C20: BED00080
	s_lshr_b32 s81, s64, s88                                   // 000000002C24: 8F515840
	s_mul_i32 s60, s3, 4                                       // 000000002C28: 923C8403
	s_add_u32 s44, s60, s44                                    // 000000002C2C: 802C2C3C
	s_addc_u32 s45, 0, s45                                     // 000000002C30: 822D2D80
	s_load_dword s5, s[44:45], 0x0                             // 000000002C34: C0020156 00000000
	s_mul_i32 s60, s3, 0x60                                    // 000000002C3C: 923CFF03 00000060
	s_mul_i32 s60, 4, s60                                      // 000000002C44: 923C3C84
	s_add_u32 s12, s60, s12                                    // 000000002C48: 800C0C3C
	s_addc_u32 s13, 0, s13                                     // 000000002C4C: 820D0D80
	v_and_b32_e32 v4, 15, v0                                   // 000000002C50: 2608008F
	v_lshlrev_b32_e32 v4, 2, v4                                // 000000002C54: 24080882
	buffer_load_dword v28, v4, s[12:15], 0 offen               // 000000002C58: E0501000 80031C04
	v_add_u32_e32 v4, 64, v4                                   // 000000002C60: 680808C0
	buffer_load_dword v29, v4, s[12:15], 0 offen               // 000000002C64: E0501000 80031D04
	v_add_u32_e32 v4, 64, v4                                   // 000000002C6C: 680808C0
	buffer_load_dword v30, v4, s[12:15], 0 offen               // 000000002C70: E0501000 80031E04
	v_add_u32_e32 v4, 64, v4                                   // 000000002C78: 680808C0
	buffer_load_dword v31, v4, s[12:15], 0 offen               // 000000002C7C: E0501000 80031F04
	v_add_u32_e32 v4, 64, v4                                   // 000000002C84: 680808C0
	buffer_load_dword v32, v4, s[12:15], 0 offen               // 000000002C88: E0501000 80032004
	v_add_u32_e32 v4, 64, v4                                   // 000000002C90: 680808C0
	buffer_load_dword v33, v4, s[12:15], 0 offen               // 000000002C94: E0501000 80032104
	v_add_u32_e32 v4, 64, v4                                   // 000000002C9C: 680808C0
	s_mul_i32 s60, 4, s7                                       // 000000002CA0: 923C0784
	v_lshlrev_b32_e32 v4, 4, v0                                // 000000002CA4: 24080084
	v_add_u32_e32 v4, s60, v4                                  // 000000002CA8: 6808083C
	buffer_load_dword v3, v4, s[12:15], 0 offen                // 000000002CAC: E0501000 80030304
	v_mov_b32_e32 v68, 0                                       // 000000002CB4: 7E880280
	v_mov_b32_e32 v116, 0                                      // 000000002CB8: 7EE80280
	v_mov_b32_e32 v69, 0                                       // 000000002CBC: 7E8A0280
	v_mov_b32_e32 v117, 0                                      // 000000002CC0: 7EEA0280
	v_mov_b32_e32 v70, 0                                       // 000000002CC4: 7E8C0280
	v_mov_b32_e32 v118, 0                                      // 000000002CC8: 7EEC0280
	v_mov_b32_e32 v71, 0                                       // 000000002CCC: 7E8E0280
	v_mov_b32_e32 v119, 0                                      // 000000002CD0: 7EEE0280
	v_mov_b32_e32 v72, 0                                       // 000000002CD4: 7E900280
	v_mov_b32_e32 v120, 0                                      // 000000002CD8: 7EF00280
	v_mov_b32_e32 v73, 0                                       // 000000002CDC: 7E920280
	v_mov_b32_e32 v121, 0                                      // 000000002CE0: 7EF20280
	v_mov_b32_e32 v74, 0                                       // 000000002CE4: 7E940280
	v_mov_b32_e32 v122, 0                                      // 000000002CE8: 7EF40280
	v_mov_b32_e32 v75, 0                                       // 000000002CEC: 7E960280
	v_mov_b32_e32 v123, 0                                      // 000000002CF0: 7EF60280
	v_mov_b32_e32 v76, 0                                       // 000000002CF4: 7E980280
	v_mov_b32_e32 v124, 0                                      // 000000002CF8: 7EF80280
	v_mov_b32_e32 v77, 0                                       // 000000002CFC: 7E9A0280
	v_mov_b32_e32 v125, 0                                      // 000000002D00: 7EFA0280
	v_mov_b32_e32 v78, 0                                       // 000000002D04: 7E9C0280
	v_mov_b32_e32 v126, 0                                      // 000000002D08: 7EFC0280
	v_mov_b32_e32 v79, 0                                       // 000000002D0C: 7E9E0280
	v_mov_b32_e32 v127, 0                                      // 000000002D10: 7EFE0280
	v_mov_b32_e32 v80, 0                                       // 000000002D14: 7EA00280
	v_mov_b32_e32 v128, 0                                      // 000000002D18: 7F000280
	v_mov_b32_e32 v81, 0                                       // 000000002D1C: 7EA20280
	v_mov_b32_e32 v129, 0                                      // 000000002D20: 7F020280
	v_mov_b32_e32 v82, 0                                       // 000000002D24: 7EA40280
	v_mov_b32_e32 v130, 0                                      // 000000002D28: 7F040280
	v_mov_b32_e32 v83, 0                                       // 000000002D2C: 7EA60280
	v_mov_b32_e32 v131, 0                                      // 000000002D30: 7F060280
	v_mov_b32_e32 v84, 0                                       // 000000002D34: 7EA80280
	v_mov_b32_e32 v132, 0                                      // 000000002D38: 7F080280
	v_mov_b32_e32 v85, 0                                       // 000000002D3C: 7EAA0280
	v_mov_b32_e32 v133, 0                                      // 000000002D40: 7F0A0280
	v_mov_b32_e32 v86, 0                                       // 000000002D44: 7EAC0280
	v_mov_b32_e32 v134, 0                                      // 000000002D48: 7F0C0280
	v_mov_b32_e32 v87, 0                                       // 000000002D4C: 7EAE0280
	v_mov_b32_e32 v135, 0                                      // 000000002D50: 7F0E0280
	v_mov_b32_e32 v88, 0                                       // 000000002D54: 7EB00280
	v_mov_b32_e32 v136, 0                                      // 000000002D58: 7F100280
	v_mov_b32_e32 v89, 0                                       // 000000002D5C: 7EB20280
	v_mov_b32_e32 v137, 0                                      // 000000002D60: 7F120280
	v_mov_b32_e32 v90, 0                                       // 000000002D64: 7EB40280
	v_mov_b32_e32 v138, 0                                      // 000000002D68: 7F140280
	v_mov_b32_e32 v91, 0                                       // 000000002D6C: 7EB60280
	v_mov_b32_e32 v139, 0                                      // 000000002D70: 7F160280
	v_mov_b32_e32 v92, 0                                       // 000000002D74: 7EB80280
	v_mov_b32_e32 v140, 0                                      // 000000002D78: 7F180280
	v_mov_b32_e32 v93, 0                                       // 000000002D7C: 7EBA0280
	v_mov_b32_e32 v141, 0                                      // 000000002D80: 7F1A0280
	v_mov_b32_e32 v94, 0                                       // 000000002D84: 7EBC0280
	v_mov_b32_e32 v142, 0                                      // 000000002D88: 7F1C0280
	v_mov_b32_e32 v95, 0                                       // 000000002D8C: 7EBE0280
	v_mov_b32_e32 v143, 0                                      // 000000002D90: 7F1E0280
	v_mov_b32_e32 v96, 0                                       // 000000002D94: 7EC00280
	v_mov_b32_e32 v144, 0                                      // 000000002D98: 7F200280
	v_mov_b32_e32 v97, 0                                       // 000000002D9C: 7EC20280
	v_mov_b32_e32 v145, 0                                      // 000000002DA0: 7F220280
	v_mov_b32_e32 v98, 0                                       // 000000002DA4: 7EC40280
	v_mov_b32_e32 v146, 0                                      // 000000002DA8: 7F240280
	v_mov_b32_e32 v99, 0                                       // 000000002DAC: 7EC60280
	v_mov_b32_e32 v147, 0                                      // 000000002DB0: 7F260280
	v_mov_b32_e32 v100, 0                                      // 000000002DB4: 7EC80280
	v_mov_b32_e32 v148, 0                                      // 000000002DB8: 7F280280
	v_mov_b32_e32 v101, 0                                      // 000000002DBC: 7ECA0280
	v_mov_b32_e32 v149, 0                                      // 000000002DC0: 7F2A0280
	v_mov_b32_e32 v102, 0                                      // 000000002DC4: 7ECC0280
	v_mov_b32_e32 v150, 0                                      // 000000002DC8: 7F2C0280
	v_mov_b32_e32 v103, 0                                      // 000000002DCC: 7ECE0280
	v_mov_b32_e32 v151, 0                                      // 000000002DD0: 7F2E0280
	v_mov_b32_e32 v104, 0                                      // 000000002DD4: 7ED00280
	v_mov_b32_e32 v152, 0                                      // 000000002DD8: 7F300280
	v_mov_b32_e32 v105, 0                                      // 000000002DDC: 7ED20280
	v_mov_b32_e32 v153, 0                                      // 000000002DE0: 7F320280
	v_mov_b32_e32 v106, 0                                      // 000000002DE4: 7ED40280
	v_mov_b32_e32 v154, 0                                      // 000000002DE8: 7F340280
	v_mov_b32_e32 v107, 0                                      // 000000002DEC: 7ED60280
	v_mov_b32_e32 v155, 0                                      // 000000002DF0: 7F360280
	v_mov_b32_e32 v108, 0                                      // 000000002DF4: 7ED80280
	v_mov_b32_e32 v156, 0                                      // 000000002DF8: 7F380280
	v_mov_b32_e32 v109, 0                                      // 000000002DFC: 7EDA0280
	v_mov_b32_e32 v157, 0                                      // 000000002E00: 7F3A0280
	v_mov_b32_e32 v110, 0                                      // 000000002E04: 7EDC0280
	v_mov_b32_e32 v158, 0                                      // 000000002E08: 7F3C0280
	v_mov_b32_e32 v111, 0                                      // 000000002E0C: 7EDE0280
	v_mov_b32_e32 v159, 0                                      // 000000002E10: 7F3E0280
	v_mov_b32_e32 v112, 0                                      // 000000002E14: 7EE00280
	v_mov_b32_e32 v160, 0                                      // 000000002E18: 7F400280
	v_mov_b32_e32 v113, 0                                      // 000000002E1C: 7EE20280
	v_mov_b32_e32 v161, 0                                      // 000000002E20: 7F420280
	v_mov_b32_e32 v114, 0                                      // 000000002E24: 7EE40280
	v_mov_b32_e32 v162, 0                                      // 000000002E28: 7F440280
	v_mov_b32_e32 v115, 0                                      // 000000002E2C: 7EE60280
	v_mov_b32_e32 v163, 0                                      // 000000002E30: 7F460280
	s_mul_i32 s60, s2, 0x100                                   // 000000002E34: 923CFF02 00000100
	s_cmp_eq_u32 s88, 0                                        // 000000002E3C: BF068058
	s_cselect_b32 s61, 1, 2                                    // 000000002E40: 853D8281
	s_mul_i32 s60, s60, s61                                    // 000000002E44: 923C3D3C
	s_mov_b32 s90, s8                                          // 000000002E48: BEDA0008
	s_mov_b32 s91, s9                                          // 000000002E4C: BEDB0009
	s_add_u32 s8, s60, s8                                      // 000000002E50: 8008083C
	s_addc_u32 s9, 0, s9                                       // 000000002E54: 82090980
	v_lshrrev_b32_e32 v4, 4, v0                                // 000000002E58: 20080084
	v_mul_lo_u32 v20, 34, v4                                   // 000000002E5C: D2850014 000208A2
	v_and_b32_e32 v4, 15, v0                                   // 000000002E64: 2608008F
	v_mul_lo_u32 v5, 2, v4                                     // 000000002E68: D2850005 00020882
	v_add_u32_e32 v20, v5, v20                                 // 000000002E70: 68282905
	s_mul_i32 s60, s7, 0x88                                    // 000000002E74: 923CFF07 00000088
	v_add_u32_e32 v20, s60, v20                                // 000000002E7C: 6828283C
	v_lshlrev_b32_e32 v20, 2, v20                              // 000000002E80: 24282882
	v_and_b32_e32 v4, 31, v0                                   // 000000002E84: 2608009F
	v_lshrrev_b32_e32 v4, 1, v4                                // 000000002E88: 20080881
	v_mul_lo_u32 v21, 34, v4                                   // 000000002E8C: D2850015 000208A2
	v_lshrrev_b32_e32 v4, 5, v0                                // 000000002E94: 20080085
	v_mul_lo_u32 v4, 8, v4                                     // 000000002E98: D2850004 00020888
	v_add_u32_e32 v21, v21, v4                                 // 000000002EA0: 682A0915
	v_and_b32_e32 v5, 1, v0                                    // 000000002EA4: 260A0081
	v_add_u32_e32 v21, v5, v21                                 // 000000002EA8: 682A2B05
	s_mul_i32 s60, s7, 2                                       // 000000002EAC: 923C8207
	v_add_u32_e32 v21, s60, v21                                // 000000002EB0: 682A2A3C
	v_lshlrev_b32_e32 v21, 2, v21                              // 000000002EB4: 242A2A82
	s_mul_i32 s60, s7, 0xc20                                   // 000000002EB8: 923CFF07 00000C20
	s_add_u32 s48, 0, s60                                      // 000000002EC0: 80303C80
	s_add_u32 s49, 0x3080, s48                                 // 000000002EC4: 803130FF 00003080
	v_lshrrev_b32_e32 v4, 4, v0                                // 000000002ECC: 20080084
	v_lshlrev_b32_e32 v5, 2, v4                                // 000000002ED0: 240A0882
	v_and_b32_e32 v4, 15, v0                                   // 000000002ED4: 2608008F
	v_lshrrev_b32_e32 v6, 2, v4                                // 000000002ED8: 200C0882
	v_lshlrev_b32_e32 v6, 5, v6                                // 000000002EDC: 240C0C85
	v_add_u32_e32 v5, v6, v5                                   // 000000002EE0: 680A0B06
	v_and_b32_e32 v4, 3, v0                                    // 000000002EE4: 26080083
	v_mul_u32_u24_e32 v6, 0x308, v4                            // 000000002EE8: 100C08FF 00000308
	v_add_u32_e32 v5, v6, v5                                   // 000000002EF0: 680A0B06
	v_lshlrev_b32_e32 v2, 2, v5                                // 000000002EF4: 24040A82
	s_waitcnt lgkmcnt(0)                                       // 000000002EF8: BF8CC07F
	s_mul_i32 s60, s2, 0x80                                    // 000000002EFC: 923CFF02 00000080
	s_mul_i32 s60, s60, s69                                    // 000000002F04: 923C453C
	s_mul_i32 s61, s5, s72                                     // 000000002F08: 923D4805
	s_add_u32 s60, s61, s60                                    // 000000002F0C: 803C3C3D
	s_add_u32 s24, s60, s24                                    // 000000002F10: 8018183C
	s_addc_u32 s25, 0, s25                                     // 000000002F14: 82191980
	s_lshr_b32 s60, s64, s88                                   // 000000002F18: 8F3C5840
	s_mul_i32 s60, s4, s60                                     // 000000002F1C: 923C3C04
	s_lshr_b32 s60, s60, 7                                     // 000000002F20: 8F3C873C
	s_mul_i32 s60, s60, 0x800                                  // 000000002F24: 923CFF3C 00000800
	s_add_u32 s24, s60, s24                                    // 000000002F2C: 8018183C
	s_addc_u32 s25, 0, s25                                     // 000000002F30: 82191980
	s_lshr_b32 s60, s69, s88                                   // 000000002F34: 8F3C5845
	s_mul_i32 s60, s4, s60                                     // 000000002F38: 923C3C04
	s_add_u32 s20, s60, s20                                    // 000000002F3C: 8014143C
	s_addc_u32 s21, 0, s21                                     // 000000002F40: 82151580
	s_mul_i32 s60, s7, 16                                      // 000000002F44: 923C9007
	s_mul_i32 s60, s60, s69                                    // 000000002F48: 923C453C
	v_lshlrev_b32_e32 v64, 4, v0                               // 000000002F4C: 24800084
	v_add_u32_e32 v64, s60, v64                                // 000000002F50: 6880803C
	s_mul_i32 s60, 64, s69                                     // 000000002F54: 923C45C0
	v_add_u32_e32 v65, s60, v64                                // 000000002F58: 6882803C
	s_mov_b32 s84, s24                                         // 000000002F5C: BED40018
	s_mov_b32 s85, s25                                         // 000000002F60: BED50019
	s_mov_b32 s86, s26                                         // 000000002F64: BED6001A
	s_mov_b32 s87, s27                                         // 000000002F68: BED7001B
	s_mul_i32 s60, s69, s65                                    // 000000002F6C: 923C4145
	s_add_u32 s84, s60, s84                                    // 000000002F70: 8054543C
	s_addc_u32 s85, 0, s85                                     // 000000002F74: 82555580
	v_lshrrev_b32_e32 v4, 4, v0                                // 000000002F78: 20080084
	v_lshlrev_b32_e32 v5, 2, v4                                // 000000002F7C: 240A0882
	v_and_b32_e32 v4, 15, v0                                   // 000000002F80: 2608008F
	v_lshrrev_b32_e32 v6, 2, v4                                // 000000002F84: 200C0882
	v_lshlrev_b32_e32 v6, 6, v6                                // 000000002F88: 240C0C86
	v_add_u32_e32 v5, v6, v5                                   // 000000002F8C: 680A0B06
	v_and_b32_e32 v4, 3, v0                                    // 000000002F90: 26080083
	v_add_u32_e32 v5, v4, v5                                   // 000000002F94: 680A0B04
	v_lshlrev_b32_e32 v22, 2, v5                               // 000000002F98: 242C0A82
	s_mul_i32 s60, s7, 16                                      // 000000002F9C: 923C9007
	s_mul_i32 s60, s60, 4                                      // 000000002FA0: 923C843C
	v_add_u32_e32 v22, s60, v22                                // 000000002FA4: 682C2C3C
	s_mul_i32 s60, s2, 0x80                                    // 000000002FA8: 923CFF02 00000080
	s_mul_i32 s60, s60, 4                                      // 000000002FB0: 923C843C
	s_mul_i32 s61, s5, s74                                     // 000000002FB4: 923D4A05
	s_add_u32 s61, s61, s60                                    // 000000002FB8: 803D3C3D
	s_add_u32 s32, s61, s32                                    // 000000002FBC: 8020203D
	s_addc_u32 s33, 0, s33                                     // 000000002FC0: 82212180
	s_mov_b32 s57, 0x80                                        // 000000002FC4: BEB900FF 00000080
	s_mov_b32 s58, 0x800                                       // 000000002FCC: BEBA00FF 00000800
	s_mov_b32 s83, s58                                         // 000000002FD4: BED3003A
	s_mov_b32 s52, 0x7060302                                   // 000000002FD8: BEB400FF 07060302
	s_mov_b32 s53, 0x400                                       // 000000002FE0: BEB500FF 00000400
	s_mov_b32 s54, 0x40100                                     // 000000002FE8: BEB600FF 00040100
	s_mov_b32 s55, 0x4020100                                   // 000000002FF0: BEB700FF 04020100
	s_mov_b32 s6, 0x3fb8aa3b                                   // 000000002FF8: BE8600FF 3FB8AA3B
	s_mov_b32 s78, 0xbd92220c                                  // 000000003000: BECE00FF BD92220C
	s_mov_b32 s79, 0xbd92220c                                  // 000000003008: BECF00FF BD92220C
	s_mov_b32 m0, s48                                          // 000000003010: BEFC0030
	v_mov_b32_e32 v1, 0xbfcc4231                               // 000000003014: 7E0202FF BFCC4231
	v_mov_b32_e32 v17, 0xffff0000                              // 00000000301C: 7E2202FF FFFF0000
	v_mov_b32_e32 v18, 0x7fff0000                              // 000000003024: 7E2402FF 7FFF0000
	v_mov_b32_e32 v19, 0x7fff                                  // 00000000302C: 7E2602FF 00007FFF
	s_waitcnt vmcnt(0) expcnt(0) lgkmcnt(0)                    // 000000003034: BF8C0000
	s_mul_i32 s60, s3, 0x60                                    // 000000003038: 923CFF03 00000060
	s_mul_i32 s60, 4, s60                                      // 000000003040: 923C3C84
	s_add_u32 s40, s60, s40                                    // 000000003044: 8028283C
	s_addc_u32 s41, 0, s41                                     // 000000003048: 82292980
	v_and_b32_e32 v4, 15, v0                                   // 00000000304C: 2608008F
	v_lshlrev_b32_e32 v4, 2, v4                                // 000000003050: 24080882
	buffer_load_dword v164, v4, s[40:43], 0 offen              // 000000003054: E0501000 800AA404
	buffer_load_dword v165, v4, s[40:43], 0 offen offset:64    // 00000000305C: E0501040 800AA504
	buffer_load_dword v166, v4, s[40:43], 0 offen offset:128   // 000000003064: E0501080 800AA604
	buffer_load_dword v167, v4, s[40:43], 0 offen offset:192   // 00000000306C: E05010C0 800AA704
	buffer_load_dword v168, v4, s[40:43], 0 offen offset:256   // 000000003074: E0501100 800AA804
	buffer_load_dword v169, v4, s[40:43], 0 offen offset:320   // 00000000307C: E0501140 800AA904
	v_lshrrev_b32_e32 v4, 5, v0                                // 000000003084: 20080085
	v_xor_b32_e32 v5, 1, v4                                    // 000000003088: 2A0A0881
	v_readlane_b32 s82, v3, 0                                  // 00000000308C: D2890052 00010103
	s_and_b32 s82, s82, 0xffffff                               // 000000003094: 8652FF52 00FFFFFF
	v_mul_lo_u32 v6, v5, s82                                   // 00000000309C: D2850006 0000A505
	v_readlane_b32 s82, v3, 1                                  // 0000000030A4: D2890052 00010303
	s_and_b32 s82, s82, 0xffffff                               // 0000000030AC: 8652FF52 00FFFFFF
	v_mul_lo_u32 v7, v4, s82                                   // 0000000030B4: D2850007 0000A504
	v_add_u32_e32 v52, v6, v7                                  // 0000000030BC: 68680F06
	v_mul_lo_u32 v52, v52, s68                                 // 0000000030C0: D2850034 00008934
	v_readlane_b32 s82, v3, 2                                  // 0000000030C8: D2890052 00010503
	s_and_b32 s82, s82, 0xffffff                               // 0000000030D0: 8652FF52 00FFFFFF
	v_mul_lo_u32 v6, v5, s82                                   // 0000000030D8: D2850006 0000A505
	v_readlane_b32 s82, v3, 3                                  // 0000000030E0: D2890052 00010703
	s_and_b32 s82, s82, 0xffffff                               // 0000000030E8: 8652FF52 00FFFFFF
	v_mul_lo_u32 v7, v4, s82                                   // 0000000030F0: D2850007 0000A504
	v_add_u32_e32 v53, v6, v7                                  // 0000000030F8: 686A0F06
	v_mul_lo_u32 v53, v53, s68                                 // 0000000030FC: D2850035 00008935
	v_readlane_b32 s82, v3, 4                                  // 000000003104: D2890052 00010903
	s_and_b32 s82, s82, 0xffffff                               // 00000000310C: 8652FF52 00FFFFFF
	v_mul_lo_u32 v6, v5, s82                                   // 000000003114: D2850006 0000A505
	v_readlane_b32 s82, v3, 5                                  // 00000000311C: D2890052 00010B03
	s_and_b32 s82, s82, 0xffffff                               // 000000003124: 8652FF52 00FFFFFF
	v_mul_lo_u32 v7, v4, s82                                   // 00000000312C: D2850007 0000A504
	v_add_u32_e32 v54, v6, v7                                  // 000000003134: 686C0F06
	v_mul_lo_u32 v54, v54, s68                                 // 000000003138: D2850036 00008936
	v_readlane_b32 s82, v3, 6                                  // 000000003140: D2890052 00010D03
	s_and_b32 s82, s82, 0xffffff                               // 000000003148: 8652FF52 00FFFFFF
	v_mul_lo_u32 v6, v5, s82                                   // 000000003150: D2850006 0000A505
	v_readlane_b32 s82, v3, 7                                  // 000000003158: D2890052 00010F03
	s_and_b32 s82, s82, 0xffffff                               // 000000003160: 8652FF52 00FFFFFF
	v_mul_lo_u32 v7, v4, s82                                   // 000000003168: D2850007 0000A504
	v_add_u32_e32 v55, v6, v7                                  // 000000003170: 686E0F06
	v_mul_lo_u32 v55, v55, s68                                 // 000000003174: D2850037 00008937
	v_readlane_b32 s82, v3, 8                                  // 00000000317C: D2890052 00011103
	s_and_b32 s82, s82, 0xffffff                               // 000000003184: 8652FF52 00FFFFFF
	v_mul_lo_u32 v6, v5, s82                                   // 00000000318C: D2850006 0000A505
	v_readlane_b32 s82, v3, 9                                  // 000000003194: D2890052 00011303
	s_and_b32 s82, s82, 0xffffff                               // 00000000319C: 8652FF52 00FFFFFF
	v_mul_lo_u32 v7, v4, s82                                   // 0000000031A4: D2850007 0000A504
	v_add_u32_e32 v56, v6, v7                                  // 0000000031AC: 68700F06
	v_mul_lo_u32 v56, v56, s68                                 // 0000000031B0: D2850038 00008938
	v_readlane_b32 s82, v3, 10                                 // 0000000031B8: D2890052 00011503
	s_and_b32 s82, s82, 0xffffff                               // 0000000031C0: 8652FF52 00FFFFFF
	v_mul_lo_u32 v6, v5, s82                                   // 0000000031C8: D2850006 0000A505
	v_readlane_b32 s82, v3, 11                                 // 0000000031D0: D2890052 00011703
	s_and_b32 s82, s82, 0xffffff                               // 0000000031D8: 8652FF52 00FFFFFF
	v_mul_lo_u32 v7, v4, s82                                   // 0000000031E0: D2850007 0000A504
	v_add_u32_e32 v57, v6, v7                                  // 0000000031E8: 68720F06
	v_mul_lo_u32 v57, v57, s68                                 // 0000000031EC: D2850039 00008939
	v_readlane_b32 s82, v3, 12                                 // 0000000031F4: D2890052 00011903
	s_and_b32 s82, s82, 0xffffff                               // 0000000031FC: 8652FF52 00FFFFFF
	v_mul_lo_u32 v6, v5, s82                                   // 000000003204: D2850006 0000A505
	v_readlane_b32 s82, v3, 13                                 // 00000000320C: D2890052 00011B03
	s_and_b32 s82, s82, 0xffffff                               // 000000003214: 8652FF52 00FFFFFF
	v_mul_lo_u32 v7, v4, s82                                   // 00000000321C: D2850007 0000A504
	v_add_u32_e32 v58, v6, v7                                  // 000000003224: 68740F06
	v_mul_lo_u32 v58, v58, s68                                 // 000000003228: D285003A 0000893A
	v_readlane_b32 s82, v3, 14                                 // 000000003230: D2890052 00011D03
	s_and_b32 s82, s82, 0xffffff                               // 000000003238: 8652FF52 00FFFFFF
	v_mul_lo_u32 v6, v5, s82                                   // 000000003240: D2850006 0000A505
	v_readlane_b32 s82, v3, 15                                 // 000000003248: D2890052 00011F03
	s_and_b32 s82, s82, 0xffffff                               // 000000003250: 8652FF52 00FFFFFF
	v_mul_lo_u32 v7, v4, s82                                   // 000000003258: D2850007 0000A504
	v_add_u32_e32 v59, v6, v7                                  // 000000003260: 68760F06
	v_mul_lo_u32 v59, v59, s68                                 // 000000003264: D285003B 0000893B
	v_readlane_b32 s82, v3, 16                                 // 00000000326C: D2890052 00012103
	s_and_b32 s82, s82, 0xffffff                               // 000000003274: 8652FF52 00FFFFFF
	v_mul_lo_u32 v6, v5, s82                                   // 00000000327C: D2850006 0000A505
	v_readlane_b32 s82, v3, 17                                 // 000000003284: D2890052 00012303
	s_and_b32 s82, s82, 0xffffff                               // 00000000328C: 8652FF52 00FFFFFF
	v_mul_lo_u32 v7, v4, s82                                   // 000000003294: D2850007 0000A504
	v_add_u32_e32 v60, v6, v7                                  // 00000000329C: 68780F06
	v_mul_lo_u32 v60, v60, s68                                 // 0000000032A0: D285003C 0000893C
	v_readlane_b32 s82, v3, 18                                 // 0000000032A8: D2890052 00012503
	s_and_b32 s82, s82, 0xffffff                               // 0000000032B0: 8652FF52 00FFFFFF
	v_mul_lo_u32 v6, v5, s82                                   // 0000000032B8: D2850006 0000A505
	v_readlane_b32 s82, v3, 19                                 // 0000000032C0: D2890052 00012703
	s_and_b32 s82, s82, 0xffffff                               // 0000000032C8: 8652FF52 00FFFFFF
	v_mul_lo_u32 v7, v4, s82                                   // 0000000032D0: D2850007 0000A504
	v_add_u32_e32 v61, v6, v7                                  // 0000000032D8: 687A0F06
	v_mul_lo_u32 v61, v61, s68                                 // 0000000032DC: D285003D 0000893D
	v_readlane_b32 s82, v3, 20                                 // 0000000032E4: D2890052 00012903
	s_and_b32 s82, s82, 0xffffff                               // 0000000032EC: 8652FF52 00FFFFFF
	v_mul_lo_u32 v6, v5, s82                                   // 0000000032F4: D2850006 0000A505
	v_readlane_b32 s82, v3, 21                                 // 0000000032FC: D2890052 00012B03
	s_and_b32 s82, s82, 0xffffff                               // 000000003304: 8652FF52 00FFFFFF
	v_mul_lo_u32 v7, v4, s82                                   // 00000000330C: D2850007 0000A504
	v_add_u32_e32 v62, v6, v7                                  // 000000003314: 687C0F06
	v_mul_lo_u32 v62, v62, s68                                 // 000000003318: D285003E 0000893E
	v_readlane_b32 s82, v3, 22                                 // 000000003320: D2890052 00012D03
	s_and_b32 s82, s82, 0xffffff                               // 000000003328: 8652FF52 00FFFFFF
	v_mul_lo_u32 v6, v5, s82                                   // 000000003330: D2850006 0000A505
	v_readlane_b32 s82, v3, 23                                 // 000000003338: D2890052 00012F03
	s_and_b32 s82, s82, 0xffffff                               // 000000003340: 8652FF52 00FFFFFF
	v_mul_lo_u32 v7, v4, s82                                   // 000000003348: D2850007 0000A504
	v_add_u32_e32 v63, v6, v7                                  // 000000003350: 687E0F06
	v_mul_lo_u32 v63, v63, s68                                 // 000000003354: D285003F 0000893F
	v_and_b32_e32 v4, 31, v0                                   // 00000000335C: 2608009F
	v_lshlrev_b32_e32 v4, 2, v4                                // 000000003360: 24080882
	v_add_u32_e32 v52, v52, v4                                 // 000000003364: 68680934
	v_add_u32_e32 v53, v53, v4                                 // 000000003368: 686A0935
	v_add_u32_e32 v54, v54, v4                                 // 00000000336C: 686C0936
	v_add_u32_e32 v55, v55, v4                                 // 000000003370: 686E0937
	v_add_u32_e32 v56, v56, v4                                 // 000000003374: 68700938
	v_add_u32_e32 v57, v57, v4                                 // 000000003378: 68720939
	v_add_u32_e32 v58, v58, v4                                 // 00000000337C: 6874093A
	v_add_u32_e32 v59, v59, v4                                 // 000000003380: 6876093B
	v_add_u32_e32 v60, v60, v4                                 // 000000003384: 6878093C
	v_add_u32_e32 v61, v61, v4                                 // 000000003388: 687A093D
	v_add_u32_e32 v62, v62, v4                                 // 00000000338C: 687C093E
	v_add_u32_e32 v63, v63, v4                                 // 000000003390: 687E093F
	v_and_b32_e32 v28, 0xffffff, v28                           // 000000003394: 263838FF 00FFFFFF
	v_lshlrev_b32_e32 v28, 2, v28                              // 00000000339C: 24383882
	v_and_b32_e32 v29, 0xffffff, v29                           // 0000000033A0: 263A3AFF 00FFFFFF
	v_lshlrev_b32_e32 v29, 2, v29                              // 0000000033A8: 243A3A82
	v_and_b32_e32 v30, 0xffffff, v30                           // 0000000033AC: 263C3CFF 00FFFFFF
	v_lshlrev_b32_e32 v30, 2, v30                              // 0000000033B4: 243C3C82
	v_and_b32_e32 v31, 0xffffff, v31                           // 0000000033B8: 263E3EFF 00FFFFFF
	v_lshlrev_b32_e32 v31, 2, v31                              // 0000000033C0: 243E3E82
	v_and_b32_e32 v32, 0xffffff, v32                           // 0000000033C4: 264040FF 00FFFFFF
	v_lshlrev_b32_e32 v32, 2, v32                              // 0000000033CC: 24404082
	v_and_b32_e32 v33, 0xffffff, v33                           // 0000000033D0: 264242FF 00FFFFFF
	v_lshlrev_b32_e32 v33, 2, v33                              // 0000000033D8: 24424282
	s_lshl_b32 s3, s66, 2                                      // 0000000033DC: 8E038242
	buffer_load_dword v34, v28, s[28:31], 0 offen              // 0000000033E0: E0501000 8007221C
	buffer_load_dword v35, v29, s[28:31], 0 offen              // 0000000033E8: E0501000 8007231D
	buffer_load_dword v36, v30, s[28:31], 0 offen              // 0000000033F0: E0501000 8007241E
	buffer_load_dword v37, v31, s[28:31], 0 offen              // 0000000033F8: E0501000 8007251F
	buffer_load_dword v38, v32, s[28:31], 0 offen              // 000000003400: E0501000 80072620
	buffer_load_dword v39, v33, s[28:31], 0 offen              // 000000003408: E0501000 80072721
	;; [unrolled: 1-line block ×3, first 2 shown]
	s_mul_i32 s60, 4, s65                                      // 000000003418: 923C4184
	s_add_u32 s32, s60, s32                                    // 00000000341C: 8020203C
	s_addc_u32 s33, 0, s33                                     // 000000003420: 82212180
	buffer_load_dword v26, v22, s[32:35], 0 offen              // 000000003424: E0501000 80081A16
	buffer_load_dword v52, s[20:23], 0 offen lds               // 00000000342C: E0511000 80050034
	s_add_u32 m0, 0x100, s48                                   // 000000003434: 807C30FF 00000100
	buffer_load_dword v53, s[20:23], 0 offen lds               // 00000000343C: E0511000 80050035
	s_add_u32 m0, 0x200, s48                                   // 000000003444: 807C30FF 00000200
	buffer_load_dword v54, s[20:23], 0 offen lds               // 00000000344C: E0511000 80050036
	s_add_u32 m0, 0x300, s48                                   // 000000003454: 807C30FF 00000300
	buffer_load_dword v55, s[20:23], 0 offen lds               // 00000000345C: E0511000 80050037
	s_add_u32 m0, 0x400, s48                                   // 000000003464: 807C30FF 00000400
	buffer_load_dword v56, s[20:23], 0 offen lds               // 00000000346C: E0511000 80050038
	s_add_u32 m0, 0x500, s48                                   // 000000003474: 807C30FF 00000500
	buffer_load_dword v57, s[20:23], 0 offen lds               // 00000000347C: E0511000 80050039
	s_add_u32 m0, 0x600, s48                                   // 000000003484: 807C30FF 00000600
	buffer_load_dword v58, s[20:23], 0 offen lds               // 00000000348C: E0511000 8005003A
	s_add_u32 m0, 0x700, s48                                   // 000000003494: 807C30FF 00000700
	buffer_load_dword v59, s[20:23], 0 offen lds               // 00000000349C: E0511000 8005003B
	s_add_u32 m0, 0x800, s48                                   // 0000000034A4: 807C30FF 00000800
	buffer_load_dword v60, s[20:23], 0 offen lds               // 0000000034AC: E0511000 8005003C
	s_add_u32 m0, 0x900, s48                                   // 0000000034B4: 807C30FF 00000900
	buffer_load_dword v61, s[20:23], 0 offen lds               // 0000000034BC: E0511000 8005003D
	s_add_u32 m0, 0xa00, s48                                   // 0000000034C4: 807C30FF 00000A00
	buffer_load_dword v62, s[20:23], 0 offen lds               // 0000000034CC: E0511000 8005003E
	s_add_u32 m0, 0xb00, s48                                   // 0000000034D4: 807C30FF 00000B00
	buffer_load_dword v63, s[20:23], 0 offen lds               // 0000000034DC: E0511000 8005003F
	s_add_u32 m0, 0, s49                                       // 0000000034E4: 807C3180
	s_add_u32 s20, s57, s20                                    // 0000000034E8: 80141439
	s_addc_u32 s21, 0, s21                                     // 0000000034EC: 82151580
	buffer_load_dword v52, s[20:23], 0 offen lds               // 0000000034F0: E0511000 80050034
	s_add_u32 m0, 0x100, s49                                   // 0000000034F8: 807C31FF 00000100
	buffer_load_dword v53, s[20:23], 0 offen lds               // 000000003500: E0511000 80050035
	s_add_u32 m0, 0x200, s49                                   // 000000003508: 807C31FF 00000200
	buffer_load_dword v54, s[20:23], 0 offen lds               // 000000003510: E0511000 80050036
	s_add_u32 m0, 0x300, s49                                   // 000000003518: 807C31FF 00000300
	;; [unrolled: 2-line block ×5, first 2 shown]
	buffer_load_dword v58, s[20:23], 0 offen lds               // 000000003550: E0511000 8005003A
	s_add_u32 m0, 0x700, s49                                   // 000000003558: 807C31FF 00000700
	buffer_load_dword v59, s[20:23], 0 offen lds               // 000000003560: E0511000 8005003B
	s_add_u32 m0, 0x800, s49                                   // 000000003568: 807C31FF 00000800
	buffer_load_dword v60, s[20:23], 0 offen lds               // 000000003570: E0511000 8005003C
	s_add_u32 m0, 0x900, s49                                   // 000000003578: 807C31FF 00000900
	buffer_load_dword v61, s[20:23], 0 offen lds               // 000000003580: E0511000 8005003D
	s_add_u32 m0, 0xa00, s49                                   // 000000003588: 807C31FF 00000A00
	buffer_load_dword v62, s[20:23], 0 offen lds               // 000000003590: E0511000 8005003E
	s_add_u32 m0, 0xb00, s49                                   // 000000003598: 807C31FF 00000B00
	buffer_load_dword v63, s[20:23], 0 offen lds               // 0000000035A0: E0511000 8005003F
	s_add_u32 m0, 0, s48                                       // 0000000035A8: 807C3080
	s_add_u32 s20, s57, s20                                    // 0000000035AC: 80141439
	s_addc_u32 s21, 0, s21                                     // 0000000035B0: 82151580
	buffer_load_dwordx4 a[96:99], v64, s[24:27], 0 offen       // 0000000035B4: E05C1000 80866040
	buffer_load_dwordx4 a[100:103], v64, s[24:27], 0 offen offset:1024// 0000000035BC: E05C1400 80866440
	buffer_load_dwordx4 a[104:107], v65, s[24:27], 0 offen     // 0000000035C4: E05C1000 80866841
	buffer_load_dwordx4 a[108:111], v65, s[24:27], 0 offen offset:1024// 0000000035CC: E05C1400 80866C41
	s_add_u32 s24, s58, s24                                    // 0000000035D4: 8018183A
	s_addc_u32 s25, 0, s25                                     // 0000000035D8: 82191980
	s_waitcnt vmcnt(16)                                        // 0000000035DC: BF8C4F70
	s_barrier                                                  // 0000000035E0: BF8A0000
	ds_read_b128 a[0:3], v2                                    // 0000000035E4: DBFE0000 00000002
	ds_read_b128 a[4:7], v2 offset:64                          // 0000000035EC: DBFE0040 04000002
	ds_read_b128 a[8:11], v2 offset:512                        // 0000000035F4: DBFE0200 08000002
	ds_read_b128 a[12:15], v2 offset:576                       // 0000000035FC: DBFE0240 0C000002
	ds_read_b128 a[16:19], v2 offset:1024                      // 000000003604: DBFE0400 10000002
	ds_read_b128 a[20:23], v2 offset:1088                      // 00000000360C: DBFE0440 14000002
	ds_read_b128 a[24:27], v2 offset:1536                      // 000000003614: DBFE0600 18000002
	ds_read_b128 a[28:31], v2 offset:1600                      // 00000000361C: DBFE0640 1C000002
	ds_read_b128 a[32:35], v2 offset:2048                      // 000000003624: DBFE0800 20000002
	ds_read_b128 a[36:39], v2 offset:2112                      // 00000000362C: DBFE0840 24000002
	ds_read_b128 a[40:43], v2 offset:2560                      // 000000003634: DBFE0A00 28000002
	ds_read_b128 a[44:47], v2 offset:2624                      // 00000000363C: DBFE0A40 2C000002
	s_cmp_lt_i32 s7, 2                                         // 000000003644: BF048207
	s_cbranch_scc0 label_13CE                                  // 000000003648: BF8410B8

000000000000364c <label_0313>:
	s_waitcnt vmcnt(2) lgkmcnt(0)                              // 00000000364C: BF8C0072
	s_barrier                                                  // 000000003650: BF8A0000
	v_mfma_f32_16x16x32_fp8_fp8 v[68:71], a[96:97], a[0:1], v[68:71]// 000000003654: D3F30044 1D120160
	v_mfma_f32_16x16x32_fp8_fp8 v[68:71], a[98:99], a[2:3], v[68:71]// 00000000365C: D3F30044 1D120562
	buffer_load_dwordx4 a[112:115], v64, s[84:87], 0 offen     // 000000003664: E05C1000 80957040
	v_mfma_f32_16x16x32_fp8_fp8 v[68:71], a[100:101], a[4:5], v[68:71]// 00000000366C: D3F30044 1D120964
	v_mfma_f32_16x16x32_fp8_fp8 v[68:71], a[102:103], a[6:7], v[68:71]// 000000003674: D3F30044 1D120D66
	v_mfma_f32_16x16x32_fp8_fp8 v[72:75], a[96:97], a[8:9], v[72:75]// 00000000367C: D3F30048 1D221160
	v_mfma_f32_16x16x32_fp8_fp8 v[72:75], a[98:99], a[10:11], v[72:75]// 000000003684: D3F30048 1D221562
	buffer_load_dwordx4 a[116:119], v64, s[84:87], 0 offen offset:1024// 00000000368C: E05C1400 80957440
	v_mfma_f32_16x16x32_fp8_fp8 v[72:75], a[100:101], a[12:13], v[72:75]// 000000003694: D3F30048 1D221964
	v_mfma_f32_16x16x32_fp8_fp8 v[72:75], a[102:103], a[14:15], v[72:75]// 00000000369C: D3F30048 1D221D66
	v_mfma_f32_16x16x32_fp8_fp8 v[76:79], a[96:97], a[16:17], v[76:79]// 0000000036A4: D3F3004C 1D322160
	v_mfma_f32_16x16x32_fp8_fp8 v[76:79], a[98:99], a[18:19], v[76:79]// 0000000036AC: D3F3004C 1D322562
	buffer_load_dwordx4 a[120:123], v65, s[84:87], 0 offen     // 0000000036B4: E05C1000 80957841
	v_mfma_f32_16x16x32_fp8_fp8 v[76:79], a[100:101], a[20:21], v[76:79]// 0000000036BC: D3F3004C 1D322964
	v_mfma_f32_16x16x32_fp8_fp8 v[76:79], a[102:103], a[22:23], v[76:79]// 0000000036C4: D3F3004C 1D322D66
	v_mfma_f32_16x16x32_fp8_fp8 v[80:83], a[96:97], a[24:25], v[80:83]// 0000000036CC: D3F30050 1D423160
	v_mfma_f32_16x16x32_fp8_fp8 v[80:83], a[98:99], a[26:27], v[80:83]// 0000000036D4: D3F30050 1D423562
	buffer_load_dwordx4 a[124:127], v65, s[84:87], 0 offen offset:1024// 0000000036DC: E05C1400 80957C41
	buffer_load_dword v52, s[20:23], 0 offen lds               // 0000000036E4: E0511000 80050034
	s_add_u32 m0, 0x100, s48                                   // 0000000036EC: 807C30FF 00000100
	v_mfma_f32_16x16x32_fp8_fp8 v[80:83], a[100:101], a[28:29], v[80:83]// 0000000036F4: D3F30050 1D423964
	v_mfma_f32_16x16x32_fp8_fp8 v[80:83], a[102:103], a[30:31], v[80:83]// 0000000036FC: D3F30050 1D423D66
	buffer_load_dword v53, s[20:23], 0 offen lds               // 000000003704: E0511000 80050035
	s_add_u32 m0, 0x200, s48                                   // 00000000370C: 807C30FF 00000200
	v_mfma_f32_16x16x32_fp8_fp8 v[84:87], a[96:97], a[32:33], v[84:87]// 000000003714: D3F30054 1D524160
	v_mfma_f32_16x16x32_fp8_fp8 v[84:87], a[98:99], a[34:35], v[84:87]// 00000000371C: D3F30054 1D524562
	buffer_load_dword v54, s[20:23], 0 offen lds               // 000000003724: E0511000 80050036
	s_add_u32 m0, 0x300, s48                                   // 00000000372C: 807C30FF 00000300
	v_mfma_f32_16x16x32_fp8_fp8 v[84:87], a[100:101], a[36:37], v[84:87]// 000000003734: D3F30054 1D524964
	v_mfma_f32_16x16x32_fp8_fp8 v[84:87], a[102:103], a[38:39], v[84:87]// 00000000373C: D3F30054 1D524D66
	buffer_load_dword v55, s[20:23], 0 offen lds               // 000000003744: E0511000 80050037
	s_add_u32 m0, 0x400, s48                                   // 00000000374C: 807C30FF 00000400
	v_mfma_f32_16x16x32_fp8_fp8 v[88:91], a[96:97], a[40:41], v[88:91]// 000000003754: D3F30058 1D625160
	v_mfma_f32_16x16x32_fp8_fp8 v[88:91], a[98:99], a[42:43], v[88:91]// 00000000375C: D3F30058 1D625562
	buffer_load_dword v56, s[20:23], 0 offen lds               // 000000003764: E0511000 80050038
	s_add_u32 m0, 0x500, s48                                   // 00000000376C: 807C30FF 00000500
	v_mfma_f32_16x16x32_fp8_fp8 v[88:91], a[100:101], a[44:45], v[88:91]// 000000003774: D3F30058 1D625964
	v_mfma_f32_16x16x32_fp8_fp8 v[88:91], a[102:103], a[46:47], v[88:91]// 00000000377C: D3F30058 1D625D66
	buffer_load_dword v57, s[20:23], 0 offen lds               // 000000003784: E0511000 80050039
	s_add_u32 m0, 0x600, s48                                   // 00000000378C: 807C30FF 00000600
	s_waitcnt vmcnt(10)                                        // 000000003794: BF8C0F7A
	v_mfma_f32_16x16x32_fp8_fp8 v[92:95], a[104:105], a[0:1], v[92:95]// 000000003798: D3F3005C 1D720168
	v_mfma_f32_16x16x32_fp8_fp8 v[92:95], a[106:107], a[2:3], v[92:95]// 0000000037A0: D3F3005C 1D72056A
	buffer_load_dword v58, s[20:23], 0 offen lds               // 0000000037A8: E0511000 8005003A
	s_add_u32 m0, 0x700, s48                                   // 0000000037B0: 807C30FF 00000700
	v_mfma_f32_16x16x32_fp8_fp8 v[92:95], a[108:109], a[4:5], v[92:95]// 0000000037B8: D3F3005C 1D72096C
	v_mfma_f32_16x16x32_fp8_fp8 v[92:95], a[110:111], a[6:7], v[92:95]// 0000000037C0: D3F3005C 1D720D6E
	buffer_load_dword v59, s[20:23], 0 offen lds               // 0000000037C8: E0511000 8005003B
	s_add_u32 m0, 0x800, s48                                   // 0000000037D0: 807C30FF 00000800
	v_mfma_f32_16x16x32_fp8_fp8 v[96:99], a[104:105], a[8:9], v[96:99]// 0000000037D8: D3F30060 1D821168
	v_mfma_f32_16x16x32_fp8_fp8 v[96:99], a[106:107], a[10:11], v[96:99]// 0000000037E0: D3F30060 1D82156A
	buffer_load_dword v60, s[20:23], 0 offen lds               // 0000000037E8: E0511000 8005003C
	s_add_u32 m0, 0x900, s48                                   // 0000000037F0: 807C30FF 00000900
	v_mfma_f32_16x16x32_fp8_fp8 v[96:99], a[108:109], a[12:13], v[96:99]// 0000000037F8: D3F30060 1D82196C
	v_mfma_f32_16x16x32_fp8_fp8 v[96:99], a[110:111], a[14:15], v[96:99]// 000000003800: D3F30060 1D821D6E
	buffer_load_dword v61, s[20:23], 0 offen lds               // 000000003808: E0511000 8005003D
	s_add_u32 m0, 0xa00, s48                                   // 000000003810: 807C30FF 00000A00
	v_mfma_f32_16x16x32_fp8_fp8 v[100:103], a[104:105], a[16:17], v[100:103]// 000000003818: D3F30064 1D922168
	v_mfma_f32_16x16x32_fp8_fp8 v[100:103], a[106:107], a[18:19], v[100:103]// 000000003820: D3F30064 1D92256A
	buffer_load_dword v62, s[20:23], 0 offen lds               // 000000003828: E0511000 8005003E
	s_add_u32 m0, 0xb00, s48                                   // 000000003830: 807C30FF 00000B00
	v_mfma_f32_16x16x32_fp8_fp8 v[100:103], a[108:109], a[20:21], v[100:103]// 000000003838: D3F30064 1D92296C
	v_mfma_f32_16x16x32_fp8_fp8 v[100:103], a[110:111], a[22:23], v[100:103]// 000000003840: D3F30064 1D922D6E
	buffer_load_dword v63, s[20:23], 0 offen lds               // 000000003848: E0511000 8005003F
	s_add_u32 m0, 0, s49                                       // 000000003850: 807C3180
	v_mfma_f32_16x16x32_fp8_fp8 v[104:107], a[104:105], a[24:25], v[104:107]// 000000003854: D3F30068 1DA23168
	v_mfma_f32_16x16x32_fp8_fp8 v[104:107], a[106:107], a[26:27], v[104:107]// 00000000385C: D3F30068 1DA2356A
	v_mfma_f32_16x16x32_fp8_fp8 v[104:107], a[108:109], a[28:29], v[104:107]// 000000003864: D3F30068 1DA2396C
	v_mfma_f32_16x16x32_fp8_fp8 v[104:107], a[110:111], a[30:31], v[104:107]// 00000000386C: D3F30068 1DA23D6E
	v_mfma_f32_16x16x32_fp8_fp8 v[108:111], a[104:105], a[32:33], v[108:111]// 000000003874: D3F3006C 1DB24168
	v_mfma_f32_16x16x32_fp8_fp8 v[108:111], a[106:107], a[34:35], v[108:111]// 00000000387C: D3F3006C 1DB2456A
	v_mfma_f32_16x16x32_fp8_fp8 v[108:111], a[108:109], a[36:37], v[108:111]// 000000003884: D3F3006C 1DB2496C
	v_mfma_f32_16x16x32_fp8_fp8 v[108:111], a[110:111], a[38:39], v[108:111]// 00000000388C: D3F3006C 1DB24D6E
	v_mfma_f32_16x16x32_fp8_fp8 v[112:115], a[104:105], a[40:41], v[112:115]// 000000003894: D3F30070 1DC25168
	v_mfma_f32_16x16x32_fp8_fp8 v[112:115], a[106:107], a[42:43], v[112:115]// 00000000389C: D3F30070 1DC2556A
	s_add_u32 s60, 0x80, s80                                   // 0000000038A4: 803C50FF 00000080
	s_cmp_lt_u32 s60, s81                                      // 0000000038AC: BF0A513C
	s_cselect_b32 s83, s83, 0                                  // 0000000038B0: 85538053
	v_mfma_f32_16x16x32_fp8_fp8 v[112:115], a[108:109], a[44:45], v[112:115]// 0000000038B4: D3F30070 1DC2596C
	v_mfma_f32_16x16x32_fp8_fp8 v[112:115], a[110:111], a[46:47], v[112:115]// 0000000038BC: D3F30070 1DC25D6E
	s_waitcnt vmcnt(12)                                        // 0000000038C4: BF8C0F7C
	v_mfma_f32_16x16x32_fp8_fp8 v[116:119], a[112:113], a[0:1], v[116:119]// 0000000038C8: D3F30074 1DD20170
	v_mfma_f32_16x16x32_fp8_fp8 v[116:119], a[114:115], a[2:3], v[116:119]// 0000000038D0: D3F30074 1DD20572
	buffer_load_dwordx4 a[96:99], v64, s[24:27], 0 offen       // 0000000038D8: E05C1000 80866040
	v_mfma_f32_16x16x32_fp8_fp8 v[116:119], a[116:117], a[4:5], v[116:119]// 0000000038E0: D3F30074 1DD20974
	v_mfma_f32_16x16x32_fp8_fp8 v[116:119], a[118:119], a[6:7], v[116:119]// 0000000038E8: D3F30074 1DD20D76
	ds_read_b128 a[48:51], v2 offset:12416                     // 0000000038F0: DBFE3080 30000002
	ds_read_b128 a[52:55], v2 offset:12480                     // 0000000038F8: DBFE30C0 34000002
	v_mfma_f32_16x16x32_fp8_fp8 v[140:143], a[120:121], a[0:1], v[140:143]// 000000003900: D3F3008C 1E320178
	v_mfma_f32_16x16x32_fp8_fp8 v[140:143], a[122:123], a[2:3], v[140:143]// 000000003908: D3F3008C 1E32057A
	buffer_load_dwordx4 a[100:103], v64, s[24:27], 0 offen offset:1024// 000000003910: E05C1400 80866440
	v_mfma_f32_16x16x32_fp8_fp8 v[140:143], a[124:125], a[4:5], v[140:143]// 000000003918: D3F3008C 1E32097C
	v_mfma_f32_16x16x32_fp8_fp8 v[140:143], a[126:127], a[6:7], v[140:143]// 000000003920: D3F3008C 1E320D7E
	ds_read_b128 a[56:59], v2 offset:12928                     // 000000003928: DBFE3280 38000002
	ds_read_b128 a[60:63], v2 offset:12992                     // 000000003930: DBFE32C0 3C000002
	v_mfma_f32_16x16x32_fp8_fp8 v[120:123], a[112:113], a[8:9], v[120:123]// 000000003938: D3F30078 1DE21170
	v_mfma_f32_16x16x32_fp8_fp8 v[120:123], a[114:115], a[10:11], v[120:123]// 000000003940: D3F30078 1DE21572
	buffer_load_dwordx4 a[104:107], v65, s[24:27], 0 offen     // 000000003948: E05C1000 80866841
	v_mfma_f32_16x16x32_fp8_fp8 v[120:123], a[116:117], a[12:13], v[120:123]// 000000003950: D3F30078 1DE21974
	v_mfma_f32_16x16x32_fp8_fp8 v[120:123], a[118:119], a[14:15], v[120:123]// 000000003958: D3F30078 1DE21D76
	ds_read_b128 a[64:67], v2 offset:13440                     // 000000003960: DBFE3480 40000002
	ds_read_b128 a[68:71], v2 offset:13504                     // 000000003968: DBFE34C0 44000002
	v_mfma_f32_16x16x32_fp8_fp8 v[144:147], a[120:121], a[8:9], v[144:147]// 000000003970: D3F30090 1E421178
	v_mfma_f32_16x16x32_fp8_fp8 v[144:147], a[122:123], a[10:11], v[144:147]// 000000003978: D3F30090 1E42157A
	buffer_load_dwordx4 a[108:111], v65, s[24:27], 0 offen offset:1024// 000000003980: E05C1400 80866C41
	v_mfma_f32_16x16x32_fp8_fp8 v[144:147], a[124:125], a[12:13], v[144:147]// 000000003988: D3F30090 1E42197C
	v_mfma_f32_16x16x32_fp8_fp8 v[144:147], a[126:127], a[14:15], v[144:147]// 000000003990: D3F30090 1E421D7E
	ds_read_b128 a[72:75], v2 offset:13952                     // 000000003998: DBFE3680 48000002
	ds_read_b128 a[76:79], v2 offset:14016                     // 0000000039A0: DBFE36C0 4C000002
	v_mfma_f32_16x16x32_fp8_fp8 v[124:127], a[112:113], a[16:17], v[124:127]// 0000000039A8: D3F3007C 1DF22170
	v_mfma_f32_16x16x32_fp8_fp8 v[124:127], a[114:115], a[18:19], v[124:127]// 0000000039B0: D3F3007C 1DF22572
	v_mfma_f32_16x16x32_fp8_fp8 v[124:127], a[116:117], a[20:21], v[124:127]// 0000000039B8: D3F3007C 1DF22974
	v_mfma_f32_16x16x32_fp8_fp8 v[124:127], a[118:119], a[22:23], v[124:127]// 0000000039C0: D3F3007C 1DF22D76
	ds_read_b128 a[80:83], v2 offset:14464                     // 0000000039C8: DBFE3880 50000002
	ds_read_b128 a[84:87], v2 offset:14528                     // 0000000039D0: DBFE38C0 54000002
	v_mfma_f32_16x16x32_fp8_fp8 v[148:151], a[120:121], a[16:17], v[148:151]// 0000000039D8: D3F30094 1E522178
	v_mfma_f32_16x16x32_fp8_fp8 v[148:151], a[122:123], a[18:19], v[148:151]// 0000000039E0: D3F30094 1E52257A
	v_mfma_f32_16x16x32_fp8_fp8 v[148:151], a[124:125], a[20:21], v[148:151]// 0000000039E8: D3F30094 1E52297C
	v_mfma_f32_16x16x32_fp8_fp8 v[148:151], a[126:127], a[22:23], v[148:151]// 0000000039F0: D3F30094 1E522D7E
	ds_read_b128 a[88:91], v2 offset:14976                     // 0000000039F8: DBFE3A80 58000002
	ds_read_b128 a[92:95], v2 offset:15040                     // 000000003A00: DBFE3AC0 5C000002
	v_mfma_f32_16x16x32_fp8_fp8 v[128:131], a[112:113], a[24:25], v[128:131]// 000000003A08: D3F30080 1E023170
	v_mfma_f32_16x16x32_fp8_fp8 v[128:131], a[114:115], a[26:27], v[128:131]// 000000003A10: D3F30080 1E023572
	v_mfma_f32_16x16x32_fp8_fp8 v[128:131], a[116:117], a[28:29], v[128:131]// 000000003A18: D3F30080 1E023974
	v_mfma_f32_16x16x32_fp8_fp8 v[128:131], a[118:119], a[30:31], v[128:131]// 000000003A20: D3F30080 1E023D76
	v_mfma_f32_16x16x32_fp8_fp8 v[152:155], a[120:121], a[24:25], v[152:155]// 000000003A28: D3F30098 1E623178
	v_mfma_f32_16x16x32_fp8_fp8 v[152:155], a[122:123], a[26:27], v[152:155]// 000000003A30: D3F30098 1E62357A
	v_mfma_f32_16x16x32_fp8_fp8 v[152:155], a[124:125], a[28:29], v[152:155]// 000000003A38: D3F30098 1E62397C
	v_mfma_f32_16x16x32_fp8_fp8 v[152:155], a[126:127], a[30:31], v[152:155]// 000000003A40: D3F30098 1E623D7E
	v_mfma_f32_16x16x32_fp8_fp8 v[132:135], a[112:113], a[32:33], v[132:135]// 000000003A48: D3F30084 1E124170
	v_mfma_f32_16x16x32_fp8_fp8 v[132:135], a[114:115], a[34:35], v[132:135]// 000000003A50: D3F30084 1E124572
	v_mfma_f32_16x16x32_fp8_fp8 v[132:135], a[116:117], a[36:37], v[132:135]// 000000003A58: D3F30084 1E124974
	v_mfma_f32_16x16x32_fp8_fp8 v[132:135], a[118:119], a[38:39], v[132:135]// 000000003A60: D3F30084 1E124D76
	v_mfma_f32_16x16x32_fp8_fp8 v[156:159], a[120:121], a[32:33], v[156:159]// 000000003A68: D3F3009C 1E724178
	v_mfma_f32_16x16x32_fp8_fp8 v[156:159], a[122:123], a[34:35], v[156:159]// 000000003A70: D3F3009C 1E72457A
	v_mfma_f32_16x16x32_fp8_fp8 v[156:159], a[124:125], a[36:37], v[156:159]// 000000003A78: D3F3009C 1E72497C
	v_mfma_f32_16x16x32_fp8_fp8 v[156:159], a[126:127], a[38:39], v[156:159]// 000000003A80: D3F3009C 1E724D7E
	v_mfma_f32_16x16x32_fp8_fp8 v[136:139], a[112:113], a[40:41], v[136:139]// 000000003A88: D3F30088 1E225170
	v_mfma_f32_16x16x32_fp8_fp8 v[136:139], a[114:115], a[42:43], v[136:139]// 000000003A90: D3F30088 1E225572
	v_mfma_f32_16x16x32_fp8_fp8 v[136:139], a[116:117], a[44:45], v[136:139]// 000000003A98: D3F30088 1E225974
	s_add_u32 s60, 0x180, s80                                  // 000000003AA0: 803C50FF 00000180
	s_cmp_lt_u32 s60, s81                                      // 000000003AA8: BF0A513C
	s_cselect_b32 s57, s57, 0                                  // 000000003AAC: 85398039
	v_mfma_f32_16x16x32_fp8_fp8 v[136:139], a[118:119], a[46:47], v[136:139]// 000000003AB0: D3F30088 1E225D76
	s_add_u32 s60, 0x100, s80                                  // 000000003AB8: 803C50FF 00000100
	s_cmp_lt_u32 s60, s81                                      // 000000003AC0: BF0A513C
	s_cselect_b32 s58, s58, 0                                  // 000000003AC4: 853A803A
	v_mfma_f32_16x16x32_fp8_fp8 v[160:163], a[120:121], a[40:41], v[160:163]// 000000003AC8: D3F300A0 1E825178
	s_add_u32 s24, s58, s24                                    // 000000003AD0: 8018183A
	s_addc_u32 s25, 0, s25                                     // 000000003AD4: 82191980
	v_mfma_f32_16x16x32_fp8_fp8 v[160:163], a[122:123], a[42:43], v[160:163]// 000000003AD8: D3F300A0 1E82557A
	s_add_u32 s20, s57, s20                                    // 000000003AE0: 80141439
	s_addc_u32 s21, 0, s21                                     // 000000003AE4: 82151580
	v_mfma_f32_16x16x32_fp8_fp8 v[160:163], a[124:125], a[44:45], v[160:163]// 000000003AE8: D3F300A0 1E82597C
	s_add_u32 s84, s83, s84                                    // 000000003AF0: 80545453
	s_addc_u32 s85, 0, s85                                     // 000000003AF4: 82555580
	v_mfma_f32_16x16x32_fp8_fp8 v[160:163], a[126:127], a[46:47], v[160:163]// 000000003AF8: D3F300A0 1E825D7E
	s_addk_i32 s80, 0x80                                       // 000000003B00: B7500080
	s_cmp_lt_i32 s80, s81                                      // 000000003B04: BF045150
	s_cbranch_scc0 label_0574                                  // 000000003B08: BF840131
	s_waitcnt vmcnt(2) lgkmcnt(0)                              // 000000003B0C: BF8C0072
	s_barrier                                                  // 000000003B10: BF8A0000
	v_mfma_f32_16x16x32_fp8_fp8 v[68:71], a[96:97], a[48:49], v[68:71]// 000000003B14: D3F30044 1D126160
	v_mfma_f32_16x16x32_fp8_fp8 v[68:71], a[98:99], a[50:51], v[68:71]// 000000003B1C: D3F30044 1D126562
	buffer_load_dwordx4 a[112:115], v64, s[84:87], 0 offen     // 000000003B24: E05C1000 80957040
	v_mfma_f32_16x16x32_fp8_fp8 v[68:71], a[100:101], a[52:53], v[68:71]// 000000003B2C: D3F30044 1D126964
	v_mfma_f32_16x16x32_fp8_fp8 v[68:71], a[102:103], a[54:55], v[68:71]// 000000003B34: D3F30044 1D126D66
	v_mfma_f32_16x16x32_fp8_fp8 v[72:75], a[96:97], a[56:57], v[72:75]// 000000003B3C: D3F30048 1D227160
	v_mfma_f32_16x16x32_fp8_fp8 v[72:75], a[98:99], a[58:59], v[72:75]// 000000003B44: D3F30048 1D227562
	buffer_load_dwordx4 a[116:119], v64, s[84:87], 0 offen offset:1024// 000000003B4C: E05C1400 80957440
	v_mfma_f32_16x16x32_fp8_fp8 v[72:75], a[100:101], a[60:61], v[72:75]// 000000003B54: D3F30048 1D227964
	v_mfma_f32_16x16x32_fp8_fp8 v[72:75], a[102:103], a[62:63], v[72:75]// 000000003B5C: D3F30048 1D227D66
	v_mfma_f32_16x16x32_fp8_fp8 v[76:79], a[96:97], a[64:65], v[76:79]// 000000003B64: D3F3004C 1D328160
	v_mfma_f32_16x16x32_fp8_fp8 v[76:79], a[98:99], a[66:67], v[76:79]// 000000003B6C: D3F3004C 1D328562
	buffer_load_dwordx4 a[120:123], v65, s[84:87], 0 offen     // 000000003B74: E05C1000 80957841
	v_mfma_f32_16x16x32_fp8_fp8 v[76:79], a[100:101], a[68:69], v[76:79]// 000000003B7C: D3F3004C 1D328964
	v_mfma_f32_16x16x32_fp8_fp8 v[76:79], a[102:103], a[70:71], v[76:79]// 000000003B84: D3F3004C 1D328D66
	v_mfma_f32_16x16x32_fp8_fp8 v[80:83], a[96:97], a[72:73], v[80:83]// 000000003B8C: D3F30050 1D429160
	v_mfma_f32_16x16x32_fp8_fp8 v[80:83], a[98:99], a[74:75], v[80:83]// 000000003B94: D3F30050 1D429562
	buffer_load_dwordx4 a[124:127], v65, s[84:87], 0 offen offset:1024// 000000003B9C: E05C1400 80957C41
	buffer_load_dword v52, s[20:23], 0 offen lds               // 000000003BA4: E0511000 80050034
	s_add_u32 m0, 0x100, s49                                   // 000000003BAC: 807C31FF 00000100
	v_mfma_f32_16x16x32_fp8_fp8 v[80:83], a[100:101], a[76:77], v[80:83]// 000000003BB4: D3F30050 1D429964
	v_mfma_f32_16x16x32_fp8_fp8 v[80:83], a[102:103], a[78:79], v[80:83]// 000000003BBC: D3F30050 1D429D66
	buffer_load_dword v53, s[20:23], 0 offen lds               // 000000003BC4: E0511000 80050035
	s_add_u32 m0, 0x200, s49                                   // 000000003BCC: 807C31FF 00000200
	v_mfma_f32_16x16x32_fp8_fp8 v[84:87], a[96:97], a[80:81], v[84:87]// 000000003BD4: D3F30054 1D52A160
	v_mfma_f32_16x16x32_fp8_fp8 v[84:87], a[98:99], a[82:83], v[84:87]// 000000003BDC: D3F30054 1D52A562
	buffer_load_dword v54, s[20:23], 0 offen lds               // 000000003BE4: E0511000 80050036
	s_add_u32 m0, 0x300, s49                                   // 000000003BEC: 807C31FF 00000300
	v_mfma_f32_16x16x32_fp8_fp8 v[84:87], a[100:101], a[84:85], v[84:87]// 000000003BF4: D3F30054 1D52A964
	v_mfma_f32_16x16x32_fp8_fp8 v[84:87], a[102:103], a[86:87], v[84:87]// 000000003BFC: D3F30054 1D52AD66
	buffer_load_dword v55, s[20:23], 0 offen lds               // 000000003C04: E0511000 80050037
	s_add_u32 m0, 0x400, s49                                   // 000000003C0C: 807C31FF 00000400
	v_mfma_f32_16x16x32_fp8_fp8 v[88:91], a[96:97], a[88:89], v[88:91]// 000000003C14: D3F30058 1D62B160
	v_mfma_f32_16x16x32_fp8_fp8 v[88:91], a[98:99], a[90:91], v[88:91]// 000000003C1C: D3F30058 1D62B562
	buffer_load_dword v56, s[20:23], 0 offen lds               // 000000003C24: E0511000 80050038
	s_add_u32 m0, 0x500, s49                                   // 000000003C2C: 807C31FF 00000500
	v_mfma_f32_16x16x32_fp8_fp8 v[88:91], a[100:101], a[92:93], v[88:91]// 000000003C34: D3F30058 1D62B964
	v_mfma_f32_16x16x32_fp8_fp8 v[88:91], a[102:103], a[94:95], v[88:91]// 000000003C3C: D3F30058 1D62BD66
	buffer_load_dword v57, s[20:23], 0 offen lds               // 000000003C44: E0511000 80050039
	s_add_u32 m0, 0x600, s49                                   // 000000003C4C: 807C31FF 00000600
	s_waitcnt vmcnt(10)                                        // 000000003C54: BF8C0F7A
	v_mfma_f32_16x16x32_fp8_fp8 v[92:95], a[104:105], a[48:49], v[92:95]// 000000003C58: D3F3005C 1D726168
	v_mfma_f32_16x16x32_fp8_fp8 v[92:95], a[106:107], a[50:51], v[92:95]// 000000003C60: D3F3005C 1D72656A
	buffer_load_dword v58, s[20:23], 0 offen lds               // 000000003C68: E0511000 8005003A
	s_add_u32 m0, 0x700, s49                                   // 000000003C70: 807C31FF 00000700
	v_mfma_f32_16x16x32_fp8_fp8 v[92:95], a[108:109], a[52:53], v[92:95]// 000000003C78: D3F3005C 1D72696C
	v_mfma_f32_16x16x32_fp8_fp8 v[92:95], a[110:111], a[54:55], v[92:95]// 000000003C80: D3F3005C 1D726D6E
	buffer_load_dword v59, s[20:23], 0 offen lds               // 000000003C88: E0511000 8005003B
	s_add_u32 m0, 0x800, s49                                   // 000000003C90: 807C31FF 00000800
	v_mfma_f32_16x16x32_fp8_fp8 v[96:99], a[104:105], a[56:57], v[96:99]// 000000003C98: D3F30060 1D827168
	v_mfma_f32_16x16x32_fp8_fp8 v[96:99], a[106:107], a[58:59], v[96:99]// 000000003CA0: D3F30060 1D82756A
	buffer_load_dword v60, s[20:23], 0 offen lds               // 000000003CA8: E0511000 8005003C
	s_add_u32 m0, 0x900, s49                                   // 000000003CB0: 807C31FF 00000900
	v_mfma_f32_16x16x32_fp8_fp8 v[96:99], a[108:109], a[60:61], v[96:99]// 000000003CB8: D3F30060 1D82796C
	v_mfma_f32_16x16x32_fp8_fp8 v[96:99], a[110:111], a[62:63], v[96:99]// 000000003CC0: D3F30060 1D827D6E
	buffer_load_dword v61, s[20:23], 0 offen lds               // 000000003CC8: E0511000 8005003D
	s_add_u32 m0, 0xa00, s49                                   // 000000003CD0: 807C31FF 00000A00
	v_mfma_f32_16x16x32_fp8_fp8 v[100:103], a[104:105], a[64:65], v[100:103]// 000000003CD8: D3F30064 1D928168
	v_mfma_f32_16x16x32_fp8_fp8 v[100:103], a[106:107], a[66:67], v[100:103]// 000000003CE0: D3F30064 1D92856A
	buffer_load_dword v62, s[20:23], 0 offen lds               // 000000003CE8: E0511000 8005003E
	s_add_u32 m0, 0xb00, s49                                   // 000000003CF0: 807C31FF 00000B00
	v_mfma_f32_16x16x32_fp8_fp8 v[100:103], a[108:109], a[68:69], v[100:103]// 000000003CF8: D3F30064 1D92896C
	v_mfma_f32_16x16x32_fp8_fp8 v[100:103], a[110:111], a[70:71], v[100:103]// 000000003D00: D3F30064 1D928D6E
	buffer_load_dword v63, s[20:23], 0 offen lds               // 000000003D08: E0511000 8005003F
	s_add_u32 m0, 0, s48                                       // 000000003D10: 807C3080
	v_mfma_f32_16x16x32_fp8_fp8 v[104:107], a[104:105], a[72:73], v[104:107]// 000000003D14: D3F30068 1DA29168
	v_mfma_f32_16x16x32_fp8_fp8 v[104:107], a[106:107], a[74:75], v[104:107]// 000000003D1C: D3F30068 1DA2956A
	v_mfma_f32_16x16x32_fp8_fp8 v[104:107], a[108:109], a[76:77], v[104:107]// 000000003D24: D3F30068 1DA2996C
	v_mfma_f32_16x16x32_fp8_fp8 v[104:107], a[110:111], a[78:79], v[104:107]// 000000003D2C: D3F30068 1DA29D6E
	v_mfma_f32_16x16x32_fp8_fp8 v[108:111], a[104:105], a[80:81], v[108:111]// 000000003D34: D3F3006C 1DB2A168
	v_mfma_f32_16x16x32_fp8_fp8 v[108:111], a[106:107], a[82:83], v[108:111]// 000000003D3C: D3F3006C 1DB2A56A
	v_mfma_f32_16x16x32_fp8_fp8 v[108:111], a[108:109], a[84:85], v[108:111]// 000000003D44: D3F3006C 1DB2A96C
	v_mfma_f32_16x16x32_fp8_fp8 v[108:111], a[110:111], a[86:87], v[108:111]// 000000003D4C: D3F3006C 1DB2AD6E
	v_mfma_f32_16x16x32_fp8_fp8 v[112:115], a[104:105], a[88:89], v[112:115]// 000000003D54: D3F30070 1DC2B168
	v_mfma_f32_16x16x32_fp8_fp8 v[112:115], a[106:107], a[90:91], v[112:115]// 000000003D5C: D3F30070 1DC2B56A
	s_add_u32 s60, 0x80, s80                                   // 000000003D64: 803C50FF 00000080
	s_cmp_lt_u32 s60, s81                                      // 000000003D6C: BF0A513C
	s_cselect_b32 s83, s83, 0                                  // 000000003D70: 85538053
	v_mfma_f32_16x16x32_fp8_fp8 v[112:115], a[108:109], a[92:93], v[112:115]// 000000003D74: D3F30070 1DC2B96C
	v_mfma_f32_16x16x32_fp8_fp8 v[112:115], a[110:111], a[94:95], v[112:115]// 000000003D7C: D3F30070 1DC2BD6E
	s_waitcnt vmcnt(12)                                        // 000000003D84: BF8C0F7C
	v_mfma_f32_16x16x32_fp8_fp8 v[116:119], a[112:113], a[48:49], v[116:119]// 000000003D88: D3F30074 1DD26170
	v_mfma_f32_16x16x32_fp8_fp8 v[116:119], a[114:115], a[50:51], v[116:119]// 000000003D90: D3F30074 1DD26572
	buffer_load_dwordx4 a[96:99], v64, s[24:27], 0 offen       // 000000003D98: E05C1000 80866040
	v_mfma_f32_16x16x32_fp8_fp8 v[116:119], a[116:117], a[52:53], v[116:119]// 000000003DA0: D3F30074 1DD26974
	v_mfma_f32_16x16x32_fp8_fp8 v[116:119], a[118:119], a[54:55], v[116:119]// 000000003DA8: D3F30074 1DD26D76
	ds_read_b128 a[0:3], v2                                    // 000000003DB0: DBFE0000 00000002
	ds_read_b128 a[4:7], v2 offset:64                          // 000000003DB8: DBFE0040 04000002
	v_mfma_f32_16x16x32_fp8_fp8 v[140:143], a[120:121], a[48:49], v[140:143]// 000000003DC0: D3F3008C 1E326178
	v_mfma_f32_16x16x32_fp8_fp8 v[140:143], a[122:123], a[50:51], v[140:143]// 000000003DC8: D3F3008C 1E32657A
	buffer_load_dwordx4 a[100:103], v64, s[24:27], 0 offen offset:1024// 000000003DD0: E05C1400 80866440
	v_mfma_f32_16x16x32_fp8_fp8 v[140:143], a[124:125], a[52:53], v[140:143]// 000000003DD8: D3F3008C 1E32697C
	v_mfma_f32_16x16x32_fp8_fp8 v[140:143], a[126:127], a[54:55], v[140:143]// 000000003DE0: D3F3008C 1E326D7E
	ds_read_b128 a[8:11], v2 offset:512                        // 000000003DE8: DBFE0200 08000002
	ds_read_b128 a[12:15], v2 offset:576                       // 000000003DF0: DBFE0240 0C000002
	v_mfma_f32_16x16x32_fp8_fp8 v[120:123], a[112:113], a[56:57], v[120:123]// 000000003DF8: D3F30078 1DE27170
	v_mfma_f32_16x16x32_fp8_fp8 v[120:123], a[114:115], a[58:59], v[120:123]// 000000003E00: D3F30078 1DE27572
	buffer_load_dwordx4 a[104:107], v65, s[24:27], 0 offen     // 000000003E08: E05C1000 80866841
	v_mfma_f32_16x16x32_fp8_fp8 v[120:123], a[116:117], a[60:61], v[120:123]// 000000003E10: D3F30078 1DE27974
	v_mfma_f32_16x16x32_fp8_fp8 v[120:123], a[118:119], a[62:63], v[120:123]// 000000003E18: D3F30078 1DE27D76
	ds_read_b128 a[16:19], v2 offset:1024                      // 000000003E20: DBFE0400 10000002
	ds_read_b128 a[20:23], v2 offset:1088                      // 000000003E28: DBFE0440 14000002
	v_mfma_f32_16x16x32_fp8_fp8 v[144:147], a[120:121], a[56:57], v[144:147]// 000000003E30: D3F30090 1E427178
	v_mfma_f32_16x16x32_fp8_fp8 v[144:147], a[122:123], a[58:59], v[144:147]// 000000003E38: D3F30090 1E42757A
	buffer_load_dwordx4 a[108:111], v65, s[24:27], 0 offen offset:1024// 000000003E40: E05C1400 80866C41
	v_mfma_f32_16x16x32_fp8_fp8 v[144:147], a[124:125], a[60:61], v[144:147]// 000000003E48: D3F30090 1E42797C
	v_mfma_f32_16x16x32_fp8_fp8 v[144:147], a[126:127], a[62:63], v[144:147]// 000000003E50: D3F30090 1E427D7E
	ds_read_b128 a[24:27], v2 offset:1536                      // 000000003E58: DBFE0600 18000002
	ds_read_b128 a[28:31], v2 offset:1600                      // 000000003E60: DBFE0640 1C000002
	v_mfma_f32_16x16x32_fp8_fp8 v[124:127], a[112:113], a[64:65], v[124:127]// 000000003E68: D3F3007C 1DF28170
	v_mfma_f32_16x16x32_fp8_fp8 v[124:127], a[114:115], a[66:67], v[124:127]// 000000003E70: D3F3007C 1DF28572
	v_mfma_f32_16x16x32_fp8_fp8 v[124:127], a[116:117], a[68:69], v[124:127]// 000000003E78: D3F3007C 1DF28974
	v_mfma_f32_16x16x32_fp8_fp8 v[124:127], a[118:119], a[70:71], v[124:127]// 000000003E80: D3F3007C 1DF28D76
	ds_read_b128 a[32:35], v2 offset:2048                      // 000000003E88: DBFE0800 20000002
	ds_read_b128 a[36:39], v2 offset:2112                      // 000000003E90: DBFE0840 24000002
	v_mfma_f32_16x16x32_fp8_fp8 v[148:151], a[120:121], a[64:65], v[148:151]// 000000003E98: D3F30094 1E528178
	v_mfma_f32_16x16x32_fp8_fp8 v[148:151], a[122:123], a[66:67], v[148:151]// 000000003EA0: D3F30094 1E52857A
	v_mfma_f32_16x16x32_fp8_fp8 v[148:151], a[124:125], a[68:69], v[148:151]// 000000003EA8: D3F30094 1E52897C
	v_mfma_f32_16x16x32_fp8_fp8 v[148:151], a[126:127], a[70:71], v[148:151]// 000000003EB0: D3F30094 1E528D7E
	ds_read_b128 a[40:43], v2 offset:2560                      // 000000003EB8: DBFE0A00 28000002
	ds_read_b128 a[44:47], v2 offset:2624                      // 000000003EC0: DBFE0A40 2C000002
	v_mfma_f32_16x16x32_fp8_fp8 v[128:131], a[112:113], a[72:73], v[128:131]// 000000003EC8: D3F30080 1E029170
	v_mfma_f32_16x16x32_fp8_fp8 v[128:131], a[114:115], a[74:75], v[128:131]// 000000003ED0: D3F30080 1E029572
	v_mfma_f32_16x16x32_fp8_fp8 v[128:131], a[116:117], a[76:77], v[128:131]// 000000003ED8: D3F30080 1E029974
	v_mfma_f32_16x16x32_fp8_fp8 v[128:131], a[118:119], a[78:79], v[128:131]// 000000003EE0: D3F30080 1E029D76
	v_mfma_f32_16x16x32_fp8_fp8 v[152:155], a[120:121], a[72:73], v[152:155]// 000000003EE8: D3F30098 1E629178
	v_mfma_f32_16x16x32_fp8_fp8 v[152:155], a[122:123], a[74:75], v[152:155]// 000000003EF0: D3F30098 1E62957A
	v_mfma_f32_16x16x32_fp8_fp8 v[152:155], a[124:125], a[76:77], v[152:155]// 000000003EF8: D3F30098 1E62997C
	v_mfma_f32_16x16x32_fp8_fp8 v[152:155], a[126:127], a[78:79], v[152:155]// 000000003F00: D3F30098 1E629D7E
	v_mfma_f32_16x16x32_fp8_fp8 v[132:135], a[112:113], a[80:81], v[132:135]// 000000003F08: D3F30084 1E12A170
	v_mfma_f32_16x16x32_fp8_fp8 v[132:135], a[114:115], a[82:83], v[132:135]// 000000003F10: D3F30084 1E12A572
	v_mfma_f32_16x16x32_fp8_fp8 v[132:135], a[116:117], a[84:85], v[132:135]// 000000003F18: D3F30084 1E12A974
	v_mfma_f32_16x16x32_fp8_fp8 v[132:135], a[118:119], a[86:87], v[132:135]// 000000003F20: D3F30084 1E12AD76
	v_mfma_f32_16x16x32_fp8_fp8 v[156:159], a[120:121], a[80:81], v[156:159]// 000000003F28: D3F3009C 1E72A178
	v_mfma_f32_16x16x32_fp8_fp8 v[156:159], a[122:123], a[82:83], v[156:159]// 000000003F30: D3F3009C 1E72A57A
	v_mfma_f32_16x16x32_fp8_fp8 v[156:159], a[124:125], a[84:85], v[156:159]// 000000003F38: D3F3009C 1E72A97C
	v_mfma_f32_16x16x32_fp8_fp8 v[156:159], a[126:127], a[86:87], v[156:159]// 000000003F40: D3F3009C 1E72AD7E
	v_mfma_f32_16x16x32_fp8_fp8 v[136:139], a[112:113], a[88:89], v[136:139]// 000000003F48: D3F30088 1E22B170
	v_mfma_f32_16x16x32_fp8_fp8 v[136:139], a[114:115], a[90:91], v[136:139]// 000000003F50: D3F30088 1E22B572
	v_mfma_f32_16x16x32_fp8_fp8 v[136:139], a[116:117], a[92:93], v[136:139]// 000000003F58: D3F30088 1E22B974
	s_add_u32 s60, 0x180, s80                                  // 000000003F60: 803C50FF 00000180
	s_cmp_lt_u32 s60, s81                                      // 000000003F68: BF0A513C
	s_cselect_b32 s57, s57, 0                                  // 000000003F6C: 85398039
	v_mfma_f32_16x16x32_fp8_fp8 v[136:139], a[118:119], a[94:95], v[136:139]// 000000003F70: D3F30088 1E22BD76
	s_add_u32 s60, 0x100, s80                                  // 000000003F78: 803C50FF 00000100
	s_cmp_lt_u32 s60, s81                                      // 000000003F80: BF0A513C
	s_cselect_b32 s58, s58, 0                                  // 000000003F84: 853A803A
	v_mfma_f32_16x16x32_fp8_fp8 v[160:163], a[120:121], a[88:89], v[160:163]// 000000003F88: D3F300A0 1E82B178
	s_add_u32 s24, s58, s24                                    // 000000003F90: 8018183A
	s_addc_u32 s25, 0, s25                                     // 000000003F94: 82191980
	v_mfma_f32_16x16x32_fp8_fp8 v[160:163], a[122:123], a[90:91], v[160:163]// 000000003F98: D3F300A0 1E82B57A
	s_add_u32 s20, s57, s20                                    // 000000003FA0: 80141439
	s_addc_u32 s21, 0, s21                                     // 000000003FA4: 82151580
	v_mfma_f32_16x16x32_fp8_fp8 v[160:163], a[124:125], a[92:93], v[160:163]// 000000003FA8: D3F300A0 1E82B97C
	s_add_u32 s84, s83, s84                                    // 000000003FB0: 80545453
	s_addc_u32 s85, 0, s85                                     // 000000003FB4: 82555580
	v_mfma_f32_16x16x32_fp8_fp8 v[160:163], a[126:127], a[94:95], v[160:163]// 000000003FB8: D3F300A0 1E82BD7E
	s_addk_i32 s80, 0x80                                       // 000000003FC0: B7500080
	s_cmp_lt_i32 s80, s81                                      // 000000003FC4: BF045150
	s_cbranch_scc0 label_0574                                  // 000000003FC8: BF840001
	s_branch label_0313                                        // 000000003FCC: BF82FD9F

0000000000003fd0 <label_0574>:
	v_mul_f32_dpp v68, v24, v68 row_newbcast:0 row_mask:0xf bank_mask:0xf// 000000003FD0: 0A8888FA FF015018
	v_mul_f32_dpp v69, v24, v69 row_newbcast:1 row_mask:0xf bank_mask:0xf// 000000003FD8: 0A8A8AFA FF015118
	v_mul_f32_dpp v70, v24, v70 row_newbcast:2 row_mask:0xf bank_mask:0xf// 000000003FE0: 0A8C8CFA FF015218
	v_mul_f32_dpp v71, v24, v71 row_newbcast:3 row_mask:0xf bank_mask:0xf// 000000003FE8: 0A8E8EFA FF015318
	v_mul_f32_dpp v72, v24, v72 row_newbcast:0 row_mask:0xf bank_mask:0xf// 000000003FF0: 0A9090FA FF015018
	v_mul_f32_dpp v73, v24, v73 row_newbcast:1 row_mask:0xf bank_mask:0xf// 000000003FF8: 0A9292FA FF015118
	v_mul_f32_dpp v74, v24, v74 row_newbcast:2 row_mask:0xf bank_mask:0xf// 000000004000: 0A9494FA FF015218
	v_mul_f32_dpp v75, v24, v75 row_newbcast:3 row_mask:0xf bank_mask:0xf// 000000004008: 0A9696FA FF015318
	v_mul_f32_dpp v76, v24, v76 row_newbcast:0 row_mask:0xf bank_mask:0xf// 000000004010: 0A9898FA FF015018
	v_mul_f32_dpp v77, v24, v77 row_newbcast:1 row_mask:0xf bank_mask:0xf// 000000004018: 0A9A9AFA FF015118
	v_mul_f32_dpp v78, v24, v78 row_newbcast:2 row_mask:0xf bank_mask:0xf// 000000004020: 0A9C9CFA FF015218
	v_mul_f32_dpp v79, v24, v79 row_newbcast:3 row_mask:0xf bank_mask:0xf// 000000004028: 0A9E9EFA FF015318
	v_mul_f32_dpp v80, v24, v80 row_newbcast:0 row_mask:0xf bank_mask:0xf// 000000004030: 0AA0A0FA FF015018
	v_mul_f32_dpp v81, v24, v81 row_newbcast:1 row_mask:0xf bank_mask:0xf// 000000004038: 0AA2A2FA FF015118
	v_mul_f32_dpp v82, v24, v82 row_newbcast:2 row_mask:0xf bank_mask:0xf// 000000004040: 0AA4A4FA FF015218
	v_mul_f32_dpp v83, v24, v83 row_newbcast:3 row_mask:0xf bank_mask:0xf// 000000004048: 0AA6A6FA FF015318
	v_mul_f32_dpp v84, v24, v84 row_newbcast:0 row_mask:0xf bank_mask:0xf// 000000004050: 0AA8A8FA FF015018
	v_mul_f32_dpp v85, v24, v85 row_newbcast:1 row_mask:0xf bank_mask:0xf// 000000004058: 0AAAAAFA FF015118
	v_mul_f32_dpp v86, v24, v86 row_newbcast:2 row_mask:0xf bank_mask:0xf// 000000004060: 0AACACFA FF015218
	v_mul_f32_dpp v87, v24, v87 row_newbcast:3 row_mask:0xf bank_mask:0xf// 000000004068: 0AAEAEFA FF015318
	v_mul_f32_dpp v88, v24, v88 row_newbcast:0 row_mask:0xf bank_mask:0xf// 000000004070: 0AB0B0FA FF015018
	v_mul_f32_dpp v89, v24, v89 row_newbcast:1 row_mask:0xf bank_mask:0xf// 000000004078: 0AB2B2FA FF015118
	v_mul_f32_dpp v90, v24, v90 row_newbcast:2 row_mask:0xf bank_mask:0xf// 000000004080: 0AB4B4FA FF015218
	v_mul_f32_dpp v91, v24, v91 row_newbcast:3 row_mask:0xf bank_mask:0xf// 000000004088: 0AB6B6FA FF015318
	v_mul_f32_dpp v92, v24, v92 row_newbcast:4 row_mask:0xf bank_mask:0xf// 000000004090: 0AB8B8FA FF015418
	v_mul_f32_dpp v93, v24, v93 row_newbcast:5 row_mask:0xf bank_mask:0xf// 000000004098: 0ABABAFA FF015518
	v_mul_f32_dpp v94, v24, v94 row_newbcast:6 row_mask:0xf bank_mask:0xf// 0000000040A0: 0ABCBCFA FF015618
	v_mul_f32_dpp v95, v24, v95 row_newbcast:7 row_mask:0xf bank_mask:0xf// 0000000040A8: 0ABEBEFA FF015718
	v_mul_f32_dpp v96, v24, v96 row_newbcast:4 row_mask:0xf bank_mask:0xf// 0000000040B0: 0AC0C0FA FF015418
	v_mul_f32_dpp v97, v24, v97 row_newbcast:5 row_mask:0xf bank_mask:0xf// 0000000040B8: 0AC2C2FA FF015518
	v_mul_f32_dpp v98, v24, v98 row_newbcast:6 row_mask:0xf bank_mask:0xf// 0000000040C0: 0AC4C4FA FF015618
	v_mul_f32_dpp v99, v24, v99 row_newbcast:7 row_mask:0xf bank_mask:0xf// 0000000040C8: 0AC6C6FA FF015718
	v_mul_f32_dpp v100, v24, v100 row_newbcast:4 row_mask:0xf bank_mask:0xf// 0000000040D0: 0AC8C8FA FF015418
	v_mul_f32_dpp v101, v24, v101 row_newbcast:5 row_mask:0xf bank_mask:0xf// 0000000040D8: 0ACACAFA FF015518
	v_mul_f32_dpp v102, v24, v102 row_newbcast:6 row_mask:0xf bank_mask:0xf// 0000000040E0: 0ACCCCFA FF015618
	v_mul_f32_dpp v103, v24, v103 row_newbcast:7 row_mask:0xf bank_mask:0xf// 0000000040E8: 0ACECEFA FF015718
	v_mul_f32_dpp v104, v24, v104 row_newbcast:4 row_mask:0xf bank_mask:0xf// 0000000040F0: 0AD0D0FA FF015418
	v_mul_f32_dpp v105, v24, v105 row_newbcast:5 row_mask:0xf bank_mask:0xf// 0000000040F8: 0AD2D2FA FF015518
	v_mul_f32_dpp v106, v24, v106 row_newbcast:6 row_mask:0xf bank_mask:0xf// 000000004100: 0AD4D4FA FF015618
	v_mul_f32_dpp v107, v24, v107 row_newbcast:7 row_mask:0xf bank_mask:0xf// 000000004108: 0AD6D6FA FF015718
	v_mul_f32_dpp v108, v24, v108 row_newbcast:4 row_mask:0xf bank_mask:0xf// 000000004110: 0AD8D8FA FF015418
	v_mul_f32_dpp v109, v24, v109 row_newbcast:5 row_mask:0xf bank_mask:0xf// 000000004118: 0ADADAFA FF015518
	v_mul_f32_dpp v110, v24, v110 row_newbcast:6 row_mask:0xf bank_mask:0xf// 000000004120: 0ADCDCFA FF015618
	v_mul_f32_dpp v111, v24, v111 row_newbcast:7 row_mask:0xf bank_mask:0xf// 000000004128: 0ADEDEFA FF015718
	v_mul_f32_dpp v112, v24, v112 row_newbcast:4 row_mask:0xf bank_mask:0xf// 000000004130: 0AE0E0FA FF015418
	v_mul_f32_dpp v113, v24, v113 row_newbcast:5 row_mask:0xf bank_mask:0xf// 000000004138: 0AE2E2FA FF015518
	v_mul_f32_dpp v114, v24, v114 row_newbcast:6 row_mask:0xf bank_mask:0xf// 000000004140: 0AE4E4FA FF015618
	v_mul_f32_dpp v115, v24, v115 row_newbcast:7 row_mask:0xf bank_mask:0xf// 000000004148: 0AE6E6FA FF015718
	v_mul_f32_dpp v116, v26, v116 row_newbcast:0 row_mask:0xf bank_mask:0xf// 000000004150: 0AE8E8FA FF01501A
	v_mul_f32_dpp v117, v26, v117 row_newbcast:1 row_mask:0xf bank_mask:0xf// 000000004158: 0AEAEAFA FF01511A
	v_mul_f32_dpp v118, v26, v118 row_newbcast:2 row_mask:0xf bank_mask:0xf// 000000004160: 0AECECFA FF01521A
	v_mul_f32_dpp v119, v26, v119 row_newbcast:3 row_mask:0xf bank_mask:0xf// 000000004168: 0AEEEEFA FF01531A
	v_mul_f32_dpp v120, v26, v120 row_newbcast:0 row_mask:0xf bank_mask:0xf// 000000004170: 0AF0F0FA FF01501A
	v_mul_f32_dpp v121, v26, v121 row_newbcast:1 row_mask:0xf bank_mask:0xf// 000000004178: 0AF2F2FA FF01511A
	v_mul_f32_dpp v122, v26, v122 row_newbcast:2 row_mask:0xf bank_mask:0xf// 000000004180: 0AF4F4FA FF01521A
	v_mul_f32_dpp v123, v26, v123 row_newbcast:3 row_mask:0xf bank_mask:0xf// 000000004188: 0AF6F6FA FF01531A
	v_mul_f32_dpp v124, v26, v124 row_newbcast:0 row_mask:0xf bank_mask:0xf// 000000004190: 0AF8F8FA FF01501A
	v_mul_f32_dpp v125, v26, v125 row_newbcast:1 row_mask:0xf bank_mask:0xf// 000000004198: 0AFAFAFA FF01511A
	v_mul_f32_dpp v126, v26, v126 row_newbcast:2 row_mask:0xf bank_mask:0xf// 0000000041A0: 0AFCFCFA FF01521A
	v_mul_f32_dpp v127, v26, v127 row_newbcast:3 row_mask:0xf bank_mask:0xf// 0000000041A8: 0AFEFEFA FF01531A
	v_mul_f32_dpp v128, v26, v128 row_newbcast:0 row_mask:0xf bank_mask:0xf// 0000000041B0: 0B0100FA FF01501A
	v_mul_f32_dpp v129, v26, v129 row_newbcast:1 row_mask:0xf bank_mask:0xf// 0000000041B8: 0B0302FA FF01511A
	v_mul_f32_dpp v130, v26, v130 row_newbcast:2 row_mask:0xf bank_mask:0xf// 0000000041C0: 0B0504FA FF01521A
	v_mul_f32_dpp v131, v26, v131 row_newbcast:3 row_mask:0xf bank_mask:0xf// 0000000041C8: 0B0706FA FF01531A
	v_mul_f32_dpp v132, v26, v132 row_newbcast:0 row_mask:0xf bank_mask:0xf// 0000000041D0: 0B0908FA FF01501A
	v_mul_f32_dpp v133, v26, v133 row_newbcast:1 row_mask:0xf bank_mask:0xf// 0000000041D8: 0B0B0AFA FF01511A
	v_mul_f32_dpp v134, v26, v134 row_newbcast:2 row_mask:0xf bank_mask:0xf// 0000000041E0: 0B0D0CFA FF01521A
	v_mul_f32_dpp v135, v26, v135 row_newbcast:3 row_mask:0xf bank_mask:0xf// 0000000041E8: 0B0F0EFA FF01531A
	v_mul_f32_dpp v136, v26, v136 row_newbcast:0 row_mask:0xf bank_mask:0xf// 0000000041F0: 0B1110FA FF01501A
	v_mul_f32_dpp v137, v26, v137 row_newbcast:1 row_mask:0xf bank_mask:0xf// 0000000041F8: 0B1312FA FF01511A
	v_mul_f32_dpp v138, v26, v138 row_newbcast:2 row_mask:0xf bank_mask:0xf// 000000004200: 0B1514FA FF01521A
	v_mul_f32_dpp v139, v26, v139 row_newbcast:3 row_mask:0xf bank_mask:0xf// 000000004208: 0B1716FA FF01531A
	v_mul_f32_dpp v140, v26, v140 row_newbcast:4 row_mask:0xf bank_mask:0xf// 000000004210: 0B1918FA FF01541A
	v_mul_f32_dpp v141, v26, v141 row_newbcast:5 row_mask:0xf bank_mask:0xf// 000000004218: 0B1B1AFA FF01551A
	v_mul_f32_dpp v142, v26, v142 row_newbcast:6 row_mask:0xf bank_mask:0xf// 000000004220: 0B1D1CFA FF01561A
	v_mul_f32_dpp v143, v26, v143 row_newbcast:7 row_mask:0xf bank_mask:0xf// 000000004228: 0B1F1EFA FF01571A
	v_mul_f32_dpp v144, v26, v144 row_newbcast:4 row_mask:0xf bank_mask:0xf// 000000004230: 0B2120FA FF01541A
	v_mul_f32_dpp v145, v26, v145 row_newbcast:5 row_mask:0xf bank_mask:0xf// 000000004238: 0B2322FA FF01551A
	v_mul_f32_dpp v146, v26, v146 row_newbcast:6 row_mask:0xf bank_mask:0xf// 000000004240: 0B2524FA FF01561A
	v_mul_f32_dpp v147, v26, v147 row_newbcast:7 row_mask:0xf bank_mask:0xf// 000000004248: 0B2726FA FF01571A
	v_mul_f32_dpp v148, v26, v148 row_newbcast:4 row_mask:0xf bank_mask:0xf// 000000004250: 0B2928FA FF01541A
	v_mul_f32_dpp v149, v26, v149 row_newbcast:5 row_mask:0xf bank_mask:0xf// 000000004258: 0B2B2AFA FF01551A
	v_mul_f32_dpp v150, v26, v150 row_newbcast:6 row_mask:0xf bank_mask:0xf// 000000004260: 0B2D2CFA FF01561A
	v_mul_f32_dpp v151, v26, v151 row_newbcast:7 row_mask:0xf bank_mask:0xf// 000000004268: 0B2F2EFA FF01571A
	v_mul_f32_dpp v152, v26, v152 row_newbcast:4 row_mask:0xf bank_mask:0xf// 000000004270: 0B3130FA FF01541A
	v_mul_f32_dpp v153, v26, v153 row_newbcast:5 row_mask:0xf bank_mask:0xf// 000000004278: 0B3332FA FF01551A
	v_mul_f32_dpp v154, v26, v154 row_newbcast:6 row_mask:0xf bank_mask:0xf// 000000004280: 0B3534FA FF01561A
	v_mul_f32_dpp v155, v26, v155 row_newbcast:7 row_mask:0xf bank_mask:0xf// 000000004288: 0B3736FA FF01571A
	v_mul_f32_dpp v156, v26, v156 row_newbcast:4 row_mask:0xf bank_mask:0xf// 000000004290: 0B3938FA FF01541A
	v_mul_f32_dpp v157, v26, v157 row_newbcast:5 row_mask:0xf bank_mask:0xf// 000000004298: 0B3B3AFA FF01551A
	v_mul_f32_dpp v158, v26, v158 row_newbcast:6 row_mask:0xf bank_mask:0xf// 0000000042A0: 0B3D3CFA FF01561A
	v_mul_f32_dpp v159, v26, v159 row_newbcast:7 row_mask:0xf bank_mask:0xf// 0000000042A8: 0B3F3EFA FF01571A
	v_mul_f32_dpp v160, v26, v160 row_newbcast:4 row_mask:0xf bank_mask:0xf// 0000000042B0: 0B4140FA FF01541A
	v_mul_f32_dpp v161, v26, v161 row_newbcast:5 row_mask:0xf bank_mask:0xf// 0000000042B8: 0B4342FA FF01551A
	v_mul_f32_dpp v162, v26, v162 row_newbcast:6 row_mask:0xf bank_mask:0xf// 0000000042C0: 0B4544FA FF01561A
	v_mul_f32_dpp v163, v26, v163 row_newbcast:7 row_mask:0xf bank_mask:0xf// 0000000042C8: 0B4746FA FF01571A
	v_mul_f32_e32 v34, v34, v164                               // 0000000042D0: 0A454922
	v_mov_b32_e32 v4, v34                                      // 0000000042D4: 7E080322
	v_mov_b32_e32 v5, v4                                       // 0000000042D8: 7E0A0304
	v_pk_mul_f32 v[68:69], v[4:5], v[68:69]                    // 0000000042DC: D3B14044 18028904
	v_pk_mul_f32 v[116:117], v[4:5], v[116:117]                // 0000000042E4: D3B14074 1802E904
	v_pk_mul_f32 v[70:71], v[4:5], v[70:71]                    // 0000000042EC: D3B14046 18028D04
	v_pk_mul_f32 v[118:119], v[4:5], v[118:119]                // 0000000042F4: D3B14076 1802ED04
	v_pk_mul_f32 v[92:93], v[4:5], v[92:93]                    // 0000000042FC: D3B1405C 1802B904
	v_pk_mul_f32 v[140:141], v[4:5], v[140:141]                // 000000004304: D3B1408C 18031904
	v_pk_mul_f32 v[94:95], v[4:5], v[94:95]                    // 00000000430C: D3B1405E 1802BD04
	v_pk_mul_f32 v[142:143], v[4:5], v[142:143]                // 000000004314: D3B1408E 18031D04
	v_mul_f32_e32 v35, v35, v165                               // 00000000431C: 0A474B23
	v_mov_b32_e32 v4, v35                                      // 000000004320: 7E080323
	v_mov_b32_e32 v5, v4                                       // 000000004324: 7E0A0304
	v_pk_mul_f32 v[72:73], v[4:5], v[72:73]                    // 000000004328: D3B14048 18029104
	v_pk_mul_f32 v[120:121], v[4:5], v[120:121]                // 000000004330: D3B14078 1802F104
	v_pk_mul_f32 v[74:75], v[4:5], v[74:75]                    // 000000004338: D3B1404A 18029504
	v_pk_mul_f32 v[122:123], v[4:5], v[122:123]                // 000000004340: D3B1407A 1802F504
	v_pk_mul_f32 v[96:97], v[4:5], v[96:97]                    // 000000004348: D3B14060 1802C104
	v_pk_mul_f32 v[144:145], v[4:5], v[144:145]                // 000000004350: D3B14090 18032104
	v_pk_mul_f32 v[98:99], v[4:5], v[98:99]                    // 000000004358: D3B14062 1802C504
	v_pk_mul_f32 v[146:147], v[4:5], v[146:147]                // 000000004360: D3B14092 18032504
	v_mul_f32_e32 v36, v36, v166                               // 000000004368: 0A494D24
	v_mov_b32_e32 v4, v36                                      // 00000000436C: 7E080324
	v_mov_b32_e32 v5, v4                                       // 000000004370: 7E0A0304
	v_pk_mul_f32 v[76:77], v[4:5], v[76:77]                    // 000000004374: D3B1404C 18029904
	v_pk_mul_f32 v[124:125], v[4:5], v[124:125]                // 00000000437C: D3B1407C 1802F904
	v_pk_mul_f32 v[78:79], v[4:5], v[78:79]                    // 000000004384: D3B1404E 18029D04
	v_pk_mul_f32 v[126:127], v[4:5], v[126:127]                // 00000000438C: D3B1407E 1802FD04
	v_pk_mul_f32 v[100:101], v[4:5], v[100:101]                // 000000004394: D3B14064 1802C904
	v_pk_mul_f32 v[148:149], v[4:5], v[148:149]                // 00000000439C: D3B14094 18032904
	v_pk_mul_f32 v[102:103], v[4:5], v[102:103]                // 0000000043A4: D3B14066 1802CD04
	v_pk_mul_f32 v[150:151], v[4:5], v[150:151]                // 0000000043AC: D3B14096 18032D04
	v_mul_f32_e32 v37, v37, v167                               // 0000000043B4: 0A4B4F25
	v_mov_b32_e32 v4, v37                                      // 0000000043B8: 7E080325
	v_mov_b32_e32 v5, v4                                       // 0000000043BC: 7E0A0304
	v_pk_mul_f32 v[80:81], v[4:5], v[80:81]                    // 0000000043C0: D3B14050 1802A104
	v_pk_mul_f32 v[128:129], v[4:5], v[128:129]                // 0000000043C8: D3B14080 18030104
	v_pk_mul_f32 v[82:83], v[4:5], v[82:83]                    // 0000000043D0: D3B14052 1802A504
	v_pk_mul_f32 v[130:131], v[4:5], v[130:131]                // 0000000043D8: D3B14082 18030504
	v_pk_mul_f32 v[104:105], v[4:5], v[104:105]                // 0000000043E0: D3B14068 1802D104
	v_pk_mul_f32 v[152:153], v[4:5], v[152:153]                // 0000000043E8: D3B14098 18033104
	v_pk_mul_f32 v[106:107], v[4:5], v[106:107]                // 0000000043F0: D3B1406A 1802D504
	v_pk_mul_f32 v[154:155], v[4:5], v[154:155]                // 0000000043F8: D3B1409A 18033504
	v_mul_f32_e32 v38, v38, v168                               // 000000004400: 0A4D5126
	v_mov_b32_e32 v4, v38                                      // 000000004404: 7E080326
	v_mov_b32_e32 v5, v4                                       // 000000004408: 7E0A0304
	v_pk_mul_f32 v[84:85], v[4:5], v[84:85]                    // 00000000440C: D3B14054 1802A904
	v_pk_mul_f32 v[132:133], v[4:5], v[132:133]                // 000000004414: D3B14084 18030904
	v_pk_mul_f32 v[86:87], v[4:5], v[86:87]                    // 00000000441C: D3B14056 1802AD04
	v_pk_mul_f32 v[134:135], v[4:5], v[134:135]                // 000000004424: D3B14086 18030D04
	v_pk_mul_f32 v[108:109], v[4:5], v[108:109]                // 00000000442C: D3B1406C 1802D904
	v_pk_mul_f32 v[156:157], v[4:5], v[156:157]                // 000000004434: D3B1409C 18033904
	v_pk_mul_f32 v[110:111], v[4:5], v[110:111]                // 00000000443C: D3B1406E 1802DD04
	v_pk_mul_f32 v[158:159], v[4:5], v[158:159]                // 000000004444: D3B1409E 18033D04
	v_mul_f32_e32 v39, v39, v169                               // 00000000444C: 0A4F5327
	v_mov_b32_e32 v4, v39                                      // 000000004450: 7E080327
	v_mov_b32_e32 v5, v4                                       // 000000004454: 7E0A0304
	v_pk_mul_f32 v[88:89], v[4:5], v[88:89]                    // 000000004458: D3B14058 1802B104
	v_pk_mul_f32 v[136:137], v[4:5], v[136:137]                // 000000004460: D3B14088 18031104
	v_pk_mul_f32 v[90:91], v[4:5], v[90:91]                    // 000000004468: D3B1405A 1802B504
	v_pk_mul_f32 v[138:139], v[4:5], v[138:139]                // 000000004470: D3B1408A 18031504
	v_pk_mul_f32 v[112:113], v[4:5], v[112:113]                // 000000004478: D3B14070 1802E104
	v_pk_mul_f32 v[160:161], v[4:5], v[160:161]                // 000000004480: D3B140A0 18034104
	v_pk_mul_f32 v[114:115], v[4:5], v[114:115]                // 000000004488: D3B14072 1802E504
	v_pk_mul_f32 v[162:163], v[4:5], v[162:163]                // 000000004490: D3B140A2 18034504
	s_cmp_eq_u32 s88, 0                                        // 000000004498: BF068058
	s_cbranch_scc0 label_0DB9                                  // 00000000449C: BF840711
	s_cmp_eq_u32 s89, 0                                        // 0000000044A0: BF068059
	s_cbranch_scc1 label_088F                                  // 0000000044A4: BF8501E5
	v_mov_b32_e32 v8, v1                                       // 0000000044A8: 7E100301
	v_mov_b32_e32 v9, v1                                       // 0000000044AC: 7E120301
	s_mov_b32 s60, s6                                          // 0000000044B0: BEBC0006
	s_mov_b32 s61, s6                                          // 0000000044B4: BEBD0006
	v_pk_mul_f32 v[4:5], v[68:69], v[68:69]                    // 0000000044B8: D3B14004 18028944
	v_pk_mul_f32 v[6:7], v[70:71], v[70:71]                    // 0000000044C0: D3B14006 18028D46
	v_pk_fma_f32 v[4:5], v[4:5], s[78:79], v[8:9]              // 0000000044C8: D3B04004 1C209D04
	v_pk_fma_f32 v[6:7], v[6:7], s[78:79], v[8:9]              // 0000000044D0: D3B04006 1C209D06
	v_pk_mul_f32 v[4:5], v[4:5], v[68:69]                      // 0000000044D8: D3B14004 18028904
	v_pk_mul_f32 v[6:7], v[6:7], v[70:71]                      // 0000000044E0: D3B14006 18028D06
	v_pk_mul_f32 v[4:5], v[4:5], s[60:61]                      // 0000000044E8: D3B14004 18007904
	v_pk_mul_f32 v[6:7], v[6:7], s[60:61]                      // 0000000044F0: D3B14006 18007906
	v_exp_f32_e32 v4, v4                                       // 0000000044F8: 7E084104
	v_exp_f32_e32 v5, v5                                       // 0000000044FC: 7E0A4105
	v_exp_f32_e32 v6, v6                                       // 000000004500: 7E0C4106
	v_exp_f32_e32 v7, v7                                       // 000000004504: 7E0E4107
	v_add_f32_e64 v4, v4, 1.0                                  // 000000004508: D1010004 0001E504
	v_add_f32_e64 v5, v5, 1.0                                  // 000000004510: D1010005 0001E505
	v_add_f32_e64 v6, v6, 1.0                                  // 000000004518: D1010006 0001E506
	v_add_f32_e64 v7, v7, 1.0                                  // 000000004520: D1010007 0001E507
	v_rcp_f32_e32 v4, v4                                       // 000000004528: 7E084504
	v_rcp_f32_e32 v5, v5                                       // 00000000452C: 7E0A4505
	v_rcp_f32_e32 v6, v6                                       // 000000004530: 7E0C4506
	v_rcp_f32_e32 v7, v7                                       // 000000004534: 7E0E4507
	v_mul_f32_e32 v68, v68, v4                                 // 000000004538: 0A880944
	v_mul_f32_e32 v69, v69, v5                                 // 00000000453C: 0A8A0B45
	v_mul_f32_e32 v70, v70, v6                                 // 000000004540: 0A8C0D46
	v_mul_f32_e32 v71, v71, v7                                 // 000000004544: 0A8E0F47
	v_mul_f32_e32 v68, v68, v116                               // 000000004548: 0A88E944
	v_mul_f32_e32 v69, v69, v117                               // 00000000454C: 0A8AEB45
	v_mul_f32_e32 v70, v70, v118                               // 000000004550: 0A8CED46
	v_mul_f32_e32 v71, v71, v119                               // 000000004554: 0A8EEF47
	v_pk_mul_f32 v[4:5], v[72:73], v[72:73]                    // 000000004558: D3B14004 18029148
	v_pk_mul_f32 v[6:7], v[74:75], v[74:75]                    // 000000004560: D3B14006 1802954A
	v_pk_fma_f32 v[4:5], v[4:5], s[78:79], v[8:9]              // 000000004568: D3B04004 1C209D04
	v_pk_fma_f32 v[6:7], v[6:7], s[78:79], v[8:9]              // 000000004570: D3B04006 1C209D06
	v_pk_mul_f32 v[4:5], v[4:5], v[72:73]                      // 000000004578: D3B14004 18029104
	v_pk_mul_f32 v[6:7], v[6:7], v[74:75]                      // 000000004580: D3B14006 18029506
	v_pk_mul_f32 v[4:5], v[4:5], s[60:61]                      // 000000004588: D3B14004 18007904
	v_pk_mul_f32 v[6:7], v[6:7], s[60:61]                      // 000000004590: D3B14006 18007906
	v_exp_f32_e32 v4, v4                                       // 000000004598: 7E084104
	v_exp_f32_e32 v5, v5                                       // 00000000459C: 7E0A4105
	v_exp_f32_e32 v6, v6                                       // 0000000045A0: 7E0C4106
	v_exp_f32_e32 v7, v7                                       // 0000000045A4: 7E0E4107
	v_add_f32_e64 v4, v4, 1.0                                  // 0000000045A8: D1010004 0001E504
	v_add_f32_e64 v5, v5, 1.0                                  // 0000000045B0: D1010005 0001E505
	v_add_f32_e64 v6, v6, 1.0                                  // 0000000045B8: D1010006 0001E506
	v_add_f32_e64 v7, v7, 1.0                                  // 0000000045C0: D1010007 0001E507
	v_rcp_f32_e32 v4, v4                                       // 0000000045C8: 7E084504
	v_rcp_f32_e32 v5, v5                                       // 0000000045CC: 7E0A4505
	v_rcp_f32_e32 v6, v6                                       // 0000000045D0: 7E0C4506
	v_rcp_f32_e32 v7, v7                                       // 0000000045D4: 7E0E4507
	v_mul_f32_e32 v72, v72, v4                                 // 0000000045D8: 0A900948
	v_mul_f32_e32 v73, v73, v5                                 // 0000000045DC: 0A920B49
	v_mul_f32_e32 v74, v74, v6                                 // 0000000045E0: 0A940D4A
	v_mul_f32_e32 v75, v75, v7                                 // 0000000045E4: 0A960F4B
	v_mul_f32_e32 v72, v72, v120                               // 0000000045E8: 0A90F148
	v_mul_f32_e32 v73, v73, v121                               // 0000000045EC: 0A92F349
	v_mul_f32_e32 v74, v74, v122                               // 0000000045F0: 0A94F54A
	v_mul_f32_e32 v75, v75, v123                               // 0000000045F4: 0A96F74B
	v_pk_mul_f32 v[4:5], v[76:77], v[76:77]                    // 0000000045F8: D3B14004 1802994C
	v_pk_mul_f32 v[6:7], v[78:79], v[78:79]                    // 000000004600: D3B14006 18029D4E
	v_pk_fma_f32 v[4:5], v[4:5], s[78:79], v[8:9]              // 000000004608: D3B04004 1C209D04
	v_pk_fma_f32 v[6:7], v[6:7], s[78:79], v[8:9]              // 000000004610: D3B04006 1C209D06
	v_pk_mul_f32 v[4:5], v[4:5], v[76:77]                      // 000000004618: D3B14004 18029904
	v_pk_mul_f32 v[6:7], v[6:7], v[78:79]                      // 000000004620: D3B14006 18029D06
	v_pk_mul_f32 v[4:5], v[4:5], s[60:61]                      // 000000004628: D3B14004 18007904
	v_pk_mul_f32 v[6:7], v[6:7], s[60:61]                      // 000000004630: D3B14006 18007906
	v_exp_f32_e32 v4, v4                                       // 000000004638: 7E084104
	v_exp_f32_e32 v5, v5                                       // 00000000463C: 7E0A4105
	v_exp_f32_e32 v6, v6                                       // 000000004640: 7E0C4106
	v_exp_f32_e32 v7, v7                                       // 000000004644: 7E0E4107
	v_add_f32_e64 v4, v4, 1.0                                  // 000000004648: D1010004 0001E504
	v_add_f32_e64 v5, v5, 1.0                                  // 000000004650: D1010005 0001E505
	v_add_f32_e64 v6, v6, 1.0                                  // 000000004658: D1010006 0001E506
	v_add_f32_e64 v7, v7, 1.0                                  // 000000004660: D1010007 0001E507
	v_rcp_f32_e32 v4, v4                                       // 000000004668: 7E084504
	v_rcp_f32_e32 v5, v5                                       // 00000000466C: 7E0A4505
	v_rcp_f32_e32 v6, v6                                       // 000000004670: 7E0C4506
	v_rcp_f32_e32 v7, v7                                       // 000000004674: 7E0E4507
	v_mul_f32_e32 v76, v76, v4                                 // 000000004678: 0A98094C
	v_mul_f32_e32 v77, v77, v5                                 // 00000000467C: 0A9A0B4D
	v_mul_f32_e32 v78, v78, v6                                 // 000000004680: 0A9C0D4E
	v_mul_f32_e32 v79, v79, v7                                 // 000000004684: 0A9E0F4F
	v_mul_f32_e32 v76, v76, v124                               // 000000004688: 0A98F94C
	v_mul_f32_e32 v77, v77, v125                               // 00000000468C: 0A9AFB4D
	v_mul_f32_e32 v78, v78, v126                               // 000000004690: 0A9CFD4E
	v_mul_f32_e32 v79, v79, v127                               // 000000004694: 0A9EFF4F
	v_pk_mul_f32 v[4:5], v[80:81], v[80:81]                    // 000000004698: D3B14004 1802A150
	v_pk_mul_f32 v[6:7], v[82:83], v[82:83]                    // 0000000046A0: D3B14006 1802A552
	v_pk_fma_f32 v[4:5], v[4:5], s[78:79], v[8:9]              // 0000000046A8: D3B04004 1C209D04
	v_pk_fma_f32 v[6:7], v[6:7], s[78:79], v[8:9]              // 0000000046B0: D3B04006 1C209D06
	v_pk_mul_f32 v[4:5], v[4:5], v[80:81]                      // 0000000046B8: D3B14004 1802A104
	v_pk_mul_f32 v[6:7], v[6:7], v[82:83]                      // 0000000046C0: D3B14006 1802A506
	v_pk_mul_f32 v[4:5], v[4:5], s[60:61]                      // 0000000046C8: D3B14004 18007904
	v_pk_mul_f32 v[6:7], v[6:7], s[60:61]                      // 0000000046D0: D3B14006 18007906
	v_exp_f32_e32 v4, v4                                       // 0000000046D8: 7E084104
	v_exp_f32_e32 v5, v5                                       // 0000000046DC: 7E0A4105
	v_exp_f32_e32 v6, v6                                       // 0000000046E0: 7E0C4106
	v_exp_f32_e32 v7, v7                                       // 0000000046E4: 7E0E4107
	v_add_f32_e64 v4, v4, 1.0                                  // 0000000046E8: D1010004 0001E504
	v_add_f32_e64 v5, v5, 1.0                                  // 0000000046F0: D1010005 0001E505
	v_add_f32_e64 v6, v6, 1.0                                  // 0000000046F8: D1010006 0001E506
	v_add_f32_e64 v7, v7, 1.0                                  // 000000004700: D1010007 0001E507
	v_rcp_f32_e32 v4, v4                                       // 000000004708: 7E084504
	v_rcp_f32_e32 v5, v5                                       // 00000000470C: 7E0A4505
	v_rcp_f32_e32 v6, v6                                       // 000000004710: 7E0C4506
	v_rcp_f32_e32 v7, v7                                       // 000000004714: 7E0E4507
	v_mul_f32_e32 v80, v80, v4                                 // 000000004718: 0AA00950
	v_mul_f32_e32 v81, v81, v5                                 // 00000000471C: 0AA20B51
	v_mul_f32_e32 v82, v82, v6                                 // 000000004720: 0AA40D52
	v_mul_f32_e32 v83, v83, v7                                 // 000000004724: 0AA60F53
	v_mul_f32_e32 v80, v80, v128                               // 000000004728: 0AA10150
	v_mul_f32_e32 v81, v81, v129                               // 00000000472C: 0AA30351
	v_mul_f32_e32 v82, v82, v130                               // 000000004730: 0AA50552
	v_mul_f32_e32 v83, v83, v131                               // 000000004734: 0AA70753
	v_pk_mul_f32 v[4:5], v[84:85], v[84:85]                    // 000000004738: D3B14004 1802A954
	v_pk_mul_f32 v[6:7], v[86:87], v[86:87]                    // 000000004740: D3B14006 1802AD56
	v_pk_fma_f32 v[4:5], v[4:5], s[78:79], v[8:9]              // 000000004748: D3B04004 1C209D04
	v_pk_fma_f32 v[6:7], v[6:7], s[78:79], v[8:9]              // 000000004750: D3B04006 1C209D06
	v_pk_mul_f32 v[4:5], v[4:5], v[84:85]                      // 000000004758: D3B14004 1802A904
	v_pk_mul_f32 v[6:7], v[6:7], v[86:87]                      // 000000004760: D3B14006 1802AD06
	v_pk_mul_f32 v[4:5], v[4:5], s[60:61]                      // 000000004768: D3B14004 18007904
	v_pk_mul_f32 v[6:7], v[6:7], s[60:61]                      // 000000004770: D3B14006 18007906
	v_exp_f32_e32 v4, v4                                       // 000000004778: 7E084104
	v_exp_f32_e32 v5, v5                                       // 00000000477C: 7E0A4105
	v_exp_f32_e32 v6, v6                                       // 000000004780: 7E0C4106
	v_exp_f32_e32 v7, v7                                       // 000000004784: 7E0E4107
	v_add_f32_e64 v4, v4, 1.0                                  // 000000004788: D1010004 0001E504
	v_add_f32_e64 v5, v5, 1.0                                  // 000000004790: D1010005 0001E505
	v_add_f32_e64 v6, v6, 1.0                                  // 000000004798: D1010006 0001E506
	v_add_f32_e64 v7, v7, 1.0                                  // 0000000047A0: D1010007 0001E507
	v_rcp_f32_e32 v4, v4                                       // 0000000047A8: 7E084504
	v_rcp_f32_e32 v5, v5                                       // 0000000047AC: 7E0A4505
	v_rcp_f32_e32 v6, v6                                       // 0000000047B0: 7E0C4506
	v_rcp_f32_e32 v7, v7                                       // 0000000047B4: 7E0E4507
	v_mul_f32_e32 v84, v84, v4                                 // 0000000047B8: 0AA80954
	v_mul_f32_e32 v85, v85, v5                                 // 0000000047BC: 0AAA0B55
	v_mul_f32_e32 v86, v86, v6                                 // 0000000047C0: 0AAC0D56
	v_mul_f32_e32 v87, v87, v7                                 // 0000000047C4: 0AAE0F57
	v_mul_f32_e32 v84, v84, v132                               // 0000000047C8: 0AA90954
	v_mul_f32_e32 v85, v85, v133                               // 0000000047CC: 0AAB0B55
	v_mul_f32_e32 v86, v86, v134                               // 0000000047D0: 0AAD0D56
	v_mul_f32_e32 v87, v87, v135                               // 0000000047D4: 0AAF0F57
	v_pk_mul_f32 v[4:5], v[88:89], v[88:89]                    // 0000000047D8: D3B14004 1802B158
	v_pk_mul_f32 v[6:7], v[90:91], v[90:91]                    // 0000000047E0: D3B14006 1802B55A
	v_pk_fma_f32 v[4:5], v[4:5], s[78:79], v[8:9]              // 0000000047E8: D3B04004 1C209D04
	v_pk_fma_f32 v[6:7], v[6:7], s[78:79], v[8:9]              // 0000000047F0: D3B04006 1C209D06
	v_pk_mul_f32 v[4:5], v[4:5], v[88:89]                      // 0000000047F8: D3B14004 1802B104
	v_pk_mul_f32 v[6:7], v[6:7], v[90:91]                      // 000000004800: D3B14006 1802B506
	v_pk_mul_f32 v[4:5], v[4:5], s[60:61]                      // 000000004808: D3B14004 18007904
	v_pk_mul_f32 v[6:7], v[6:7], s[60:61]                      // 000000004810: D3B14006 18007906
	v_exp_f32_e32 v4, v4                                       // 000000004818: 7E084104
	v_exp_f32_e32 v5, v5                                       // 00000000481C: 7E0A4105
	v_exp_f32_e32 v6, v6                                       // 000000004820: 7E0C4106
	v_exp_f32_e32 v7, v7                                       // 000000004824: 7E0E4107
	v_add_f32_e64 v4, v4, 1.0                                  // 000000004828: D1010004 0001E504
	v_add_f32_e64 v5, v5, 1.0                                  // 000000004830: D1010005 0001E505
	v_add_f32_e64 v6, v6, 1.0                                  // 000000004838: D1010006 0001E506
	v_add_f32_e64 v7, v7, 1.0                                  // 000000004840: D1010007 0001E507
	v_rcp_f32_e32 v4, v4                                       // 000000004848: 7E084504
	v_rcp_f32_e32 v5, v5                                       // 00000000484C: 7E0A4505
	v_rcp_f32_e32 v6, v6                                       // 000000004850: 7E0C4506
	v_rcp_f32_e32 v7, v7                                       // 000000004854: 7E0E4507
	v_mul_f32_e32 v88, v88, v4                                 // 000000004858: 0AB00958
	v_mul_f32_e32 v89, v89, v5                                 // 00000000485C: 0AB20B59
	v_mul_f32_e32 v90, v90, v6                                 // 000000004860: 0AB40D5A
	v_mul_f32_e32 v91, v91, v7                                 // 000000004864: 0AB60F5B
	v_mul_f32_e32 v88, v88, v136                               // 000000004868: 0AB11158
	v_mul_f32_e32 v89, v89, v137                               // 00000000486C: 0AB31359
	v_mul_f32_e32 v90, v90, v138                               // 000000004870: 0AB5155A
	v_mul_f32_e32 v91, v91, v139                               // 000000004874: 0AB7175B
	v_pk_mul_f32 v[4:5], v[92:93], v[92:93]                    // 000000004878: D3B14004 1802B95C
	v_pk_mul_f32 v[6:7], v[94:95], v[94:95]                    // 000000004880: D3B14006 1802BD5E
	v_pk_fma_f32 v[4:5], v[4:5], s[78:79], v[8:9]              // 000000004888: D3B04004 1C209D04
	v_pk_fma_f32 v[6:7], v[6:7], s[78:79], v[8:9]              // 000000004890: D3B04006 1C209D06
	v_pk_mul_f32 v[4:5], v[4:5], v[92:93]                      // 000000004898: D3B14004 1802B904
	v_pk_mul_f32 v[6:7], v[6:7], v[94:95]                      // 0000000048A0: D3B14006 1802BD06
	v_pk_mul_f32 v[4:5], v[4:5], s[60:61]                      // 0000000048A8: D3B14004 18007904
	v_pk_mul_f32 v[6:7], v[6:7], s[60:61]                      // 0000000048B0: D3B14006 18007906
	v_exp_f32_e32 v4, v4                                       // 0000000048B8: 7E084104
	v_exp_f32_e32 v5, v5                                       // 0000000048BC: 7E0A4105
	v_exp_f32_e32 v6, v6                                       // 0000000048C0: 7E0C4106
	v_exp_f32_e32 v7, v7                                       // 0000000048C4: 7E0E4107
	v_add_f32_e64 v4, v4, 1.0                                  // 0000000048C8: D1010004 0001E504
	v_add_f32_e64 v5, v5, 1.0                                  // 0000000048D0: D1010005 0001E505
	v_add_f32_e64 v6, v6, 1.0                                  // 0000000048D8: D1010006 0001E506
	v_add_f32_e64 v7, v7, 1.0                                  // 0000000048E0: D1010007 0001E507
	v_rcp_f32_e32 v4, v4                                       // 0000000048E8: 7E084504
	v_rcp_f32_e32 v5, v5                                       // 0000000048EC: 7E0A4505
	v_rcp_f32_e32 v6, v6                                       // 0000000048F0: 7E0C4506
	v_rcp_f32_e32 v7, v7                                       // 0000000048F4: 7E0E4507
	v_mul_f32_e32 v92, v92, v4                                 // 0000000048F8: 0AB8095C
	v_mul_f32_e32 v93, v93, v5                                 // 0000000048FC: 0ABA0B5D
	v_mul_f32_e32 v94, v94, v6                                 // 000000004900: 0ABC0D5E
	v_mul_f32_e32 v95, v95, v7                                 // 000000004904: 0ABE0F5F
	v_mul_f32_e32 v92, v92, v140                               // 000000004908: 0AB9195C
	v_mul_f32_e32 v93, v93, v141                               // 00000000490C: 0ABB1B5D
	v_mul_f32_e32 v94, v94, v142                               // 000000004910: 0ABD1D5E
	v_mul_f32_e32 v95, v95, v143                               // 000000004914: 0ABF1F5F
	v_pk_mul_f32 v[4:5], v[96:97], v[96:97]                    // 000000004918: D3B14004 1802C160
	v_pk_mul_f32 v[6:7], v[98:99], v[98:99]                    // 000000004920: D3B14006 1802C562
	v_pk_fma_f32 v[4:5], v[4:5], s[78:79], v[8:9]              // 000000004928: D3B04004 1C209D04
	v_pk_fma_f32 v[6:7], v[6:7], s[78:79], v[8:9]              // 000000004930: D3B04006 1C209D06
	v_pk_mul_f32 v[4:5], v[4:5], v[96:97]                      // 000000004938: D3B14004 1802C104
	v_pk_mul_f32 v[6:7], v[6:7], v[98:99]                      // 000000004940: D3B14006 1802C506
	v_pk_mul_f32 v[4:5], v[4:5], s[60:61]                      // 000000004948: D3B14004 18007904
	v_pk_mul_f32 v[6:7], v[6:7], s[60:61]                      // 000000004950: D3B14006 18007906
	v_exp_f32_e32 v4, v4                                       // 000000004958: 7E084104
	v_exp_f32_e32 v5, v5                                       // 00000000495C: 7E0A4105
	v_exp_f32_e32 v6, v6                                       // 000000004960: 7E0C4106
	v_exp_f32_e32 v7, v7                                       // 000000004964: 7E0E4107
	v_add_f32_e64 v4, v4, 1.0                                  // 000000004968: D1010004 0001E504
	v_add_f32_e64 v5, v5, 1.0                                  // 000000004970: D1010005 0001E505
	v_add_f32_e64 v6, v6, 1.0                                  // 000000004978: D1010006 0001E506
	v_add_f32_e64 v7, v7, 1.0                                  // 000000004980: D1010007 0001E507
	v_rcp_f32_e32 v4, v4                                       // 000000004988: 7E084504
	v_rcp_f32_e32 v5, v5                                       // 00000000498C: 7E0A4505
	v_rcp_f32_e32 v6, v6                                       // 000000004990: 7E0C4506
	v_rcp_f32_e32 v7, v7                                       // 000000004994: 7E0E4507
	v_mul_f32_e32 v96, v96, v4                                 // 000000004998: 0AC00960
	v_mul_f32_e32 v97, v97, v5                                 // 00000000499C: 0AC20B61
	v_mul_f32_e32 v98, v98, v6                                 // 0000000049A0: 0AC40D62
	v_mul_f32_e32 v99, v99, v7                                 // 0000000049A4: 0AC60F63
	v_mul_f32_e32 v96, v96, v144                               // 0000000049A8: 0AC12160
	v_mul_f32_e32 v97, v97, v145                               // 0000000049AC: 0AC32361
	v_mul_f32_e32 v98, v98, v146                               // 0000000049B0: 0AC52562
	v_mul_f32_e32 v99, v99, v147                               // 0000000049B4: 0AC72763
	v_pk_mul_f32 v[4:5], v[100:101], v[100:101]                // 0000000049B8: D3B14004 1802C964
	v_pk_mul_f32 v[6:7], v[102:103], v[102:103]                // 0000000049C0: D3B14006 1802CD66
	v_pk_fma_f32 v[4:5], v[4:5], s[78:79], v[8:9]              // 0000000049C8: D3B04004 1C209D04
	v_pk_fma_f32 v[6:7], v[6:7], s[78:79], v[8:9]              // 0000000049D0: D3B04006 1C209D06
	v_pk_mul_f32 v[4:5], v[4:5], v[100:101]                    // 0000000049D8: D3B14004 1802C904
	v_pk_mul_f32 v[6:7], v[6:7], v[102:103]                    // 0000000049E0: D3B14006 1802CD06
	v_pk_mul_f32 v[4:5], v[4:5], s[60:61]                      // 0000000049E8: D3B14004 18007904
	v_pk_mul_f32 v[6:7], v[6:7], s[60:61]                      // 0000000049F0: D3B14006 18007906
	v_exp_f32_e32 v4, v4                                       // 0000000049F8: 7E084104
	v_exp_f32_e32 v5, v5                                       // 0000000049FC: 7E0A4105
	v_exp_f32_e32 v6, v6                                       // 000000004A00: 7E0C4106
	v_exp_f32_e32 v7, v7                                       // 000000004A04: 7E0E4107
	v_add_f32_e64 v4, v4, 1.0                                  // 000000004A08: D1010004 0001E504
	v_add_f32_e64 v5, v5, 1.0                                  // 000000004A10: D1010005 0001E505
	v_add_f32_e64 v6, v6, 1.0                                  // 000000004A18: D1010006 0001E506
	v_add_f32_e64 v7, v7, 1.0                                  // 000000004A20: D1010007 0001E507
	v_rcp_f32_e32 v4, v4                                       // 000000004A28: 7E084504
	v_rcp_f32_e32 v5, v5                                       // 000000004A2C: 7E0A4505
	v_rcp_f32_e32 v6, v6                                       // 000000004A30: 7E0C4506
	v_rcp_f32_e32 v7, v7                                       // 000000004A34: 7E0E4507
	v_mul_f32_e32 v100, v100, v4                               // 000000004A38: 0AC80964
	v_mul_f32_e32 v101, v101, v5                               // 000000004A3C: 0ACA0B65
	v_mul_f32_e32 v102, v102, v6                               // 000000004A40: 0ACC0D66
	v_mul_f32_e32 v103, v103, v7                               // 000000004A44: 0ACE0F67
	v_mul_f32_e32 v100, v100, v148                             // 000000004A48: 0AC92964
	v_mul_f32_e32 v101, v101, v149                             // 000000004A4C: 0ACB2B65
	v_mul_f32_e32 v102, v102, v150                             // 000000004A50: 0ACD2D66
	v_mul_f32_e32 v103, v103, v151                             // 000000004A54: 0ACF2F67
	v_pk_mul_f32 v[4:5], v[104:105], v[104:105]                // 000000004A58: D3B14004 1802D168
	v_pk_mul_f32 v[6:7], v[106:107], v[106:107]                // 000000004A60: D3B14006 1802D56A
	v_pk_fma_f32 v[4:5], v[4:5], s[78:79], v[8:9]              // 000000004A68: D3B04004 1C209D04
	v_pk_fma_f32 v[6:7], v[6:7], s[78:79], v[8:9]              // 000000004A70: D3B04006 1C209D06
	v_pk_mul_f32 v[4:5], v[4:5], v[104:105]                    // 000000004A78: D3B14004 1802D104
	v_pk_mul_f32 v[6:7], v[6:7], v[106:107]                    // 000000004A80: D3B14006 1802D506
	v_pk_mul_f32 v[4:5], v[4:5], s[60:61]                      // 000000004A88: D3B14004 18007904
	v_pk_mul_f32 v[6:7], v[6:7], s[60:61]                      // 000000004A90: D3B14006 18007906
	v_exp_f32_e32 v4, v4                                       // 000000004A98: 7E084104
	v_exp_f32_e32 v5, v5                                       // 000000004A9C: 7E0A4105
	v_exp_f32_e32 v6, v6                                       // 000000004AA0: 7E0C4106
	v_exp_f32_e32 v7, v7                                       // 000000004AA4: 7E0E4107
	v_add_f32_e64 v4, v4, 1.0                                  // 000000004AA8: D1010004 0001E504
	v_add_f32_e64 v5, v5, 1.0                                  // 000000004AB0: D1010005 0001E505
	v_add_f32_e64 v6, v6, 1.0                                  // 000000004AB8: D1010006 0001E506
	v_add_f32_e64 v7, v7, 1.0                                  // 000000004AC0: D1010007 0001E507
	v_rcp_f32_e32 v4, v4                                       // 000000004AC8: 7E084504
	v_rcp_f32_e32 v5, v5                                       // 000000004ACC: 7E0A4505
	v_rcp_f32_e32 v6, v6                                       // 000000004AD0: 7E0C4506
	v_rcp_f32_e32 v7, v7                                       // 000000004AD4: 7E0E4507
	v_mul_f32_e32 v104, v104, v4                               // 000000004AD8: 0AD00968
	v_mul_f32_e32 v105, v105, v5                               // 000000004ADC: 0AD20B69
	v_mul_f32_e32 v106, v106, v6                               // 000000004AE0: 0AD40D6A
	v_mul_f32_e32 v107, v107, v7                               // 000000004AE4: 0AD60F6B
	v_mul_f32_e32 v104, v104, v152                             // 000000004AE8: 0AD13168
	v_mul_f32_e32 v105, v105, v153                             // 000000004AEC: 0AD33369
	v_mul_f32_e32 v106, v106, v154                             // 000000004AF0: 0AD5356A
	v_mul_f32_e32 v107, v107, v155                             // 000000004AF4: 0AD7376B
	v_pk_mul_f32 v[4:5], v[108:109], v[108:109]                // 000000004AF8: D3B14004 1802D96C
	v_pk_mul_f32 v[6:7], v[110:111], v[110:111]                // 000000004B00: D3B14006 1802DD6E
	v_pk_fma_f32 v[4:5], v[4:5], s[78:79], v[8:9]              // 000000004B08: D3B04004 1C209D04
	v_pk_fma_f32 v[6:7], v[6:7], s[78:79], v[8:9]              // 000000004B10: D3B04006 1C209D06
	v_pk_mul_f32 v[4:5], v[4:5], v[108:109]                    // 000000004B18: D3B14004 1802D904
	v_pk_mul_f32 v[6:7], v[6:7], v[110:111]                    // 000000004B20: D3B14006 1802DD06
	v_pk_mul_f32 v[4:5], v[4:5], s[60:61]                      // 000000004B28: D3B14004 18007904
	v_pk_mul_f32 v[6:7], v[6:7], s[60:61]                      // 000000004B30: D3B14006 18007906
	v_exp_f32_e32 v4, v4                                       // 000000004B38: 7E084104
	v_exp_f32_e32 v5, v5                                       // 000000004B3C: 7E0A4105
	v_exp_f32_e32 v6, v6                                       // 000000004B40: 7E0C4106
	v_exp_f32_e32 v7, v7                                       // 000000004B44: 7E0E4107
	v_add_f32_e64 v4, v4, 1.0                                  // 000000004B48: D1010004 0001E504
	v_add_f32_e64 v5, v5, 1.0                                  // 000000004B50: D1010005 0001E505
	v_add_f32_e64 v6, v6, 1.0                                  // 000000004B58: D1010006 0001E506
	v_add_f32_e64 v7, v7, 1.0                                  // 000000004B60: D1010007 0001E507
	v_rcp_f32_e32 v4, v4                                       // 000000004B68: 7E084504
	v_rcp_f32_e32 v5, v5                                       // 000000004B6C: 7E0A4505
	v_rcp_f32_e32 v6, v6                                       // 000000004B70: 7E0C4506
	v_rcp_f32_e32 v7, v7                                       // 000000004B74: 7E0E4507
	v_mul_f32_e32 v108, v108, v4                               // 000000004B78: 0AD8096C
	v_mul_f32_e32 v109, v109, v5                               // 000000004B7C: 0ADA0B6D
	v_mul_f32_e32 v110, v110, v6                               // 000000004B80: 0ADC0D6E
	v_mul_f32_e32 v111, v111, v7                               // 000000004B84: 0ADE0F6F
	v_mul_f32_e32 v108, v108, v156                             // 000000004B88: 0AD9396C
	v_mul_f32_e32 v109, v109, v157                             // 000000004B8C: 0ADB3B6D
	v_mul_f32_e32 v110, v110, v158                             // 000000004B90: 0ADD3D6E
	v_mul_f32_e32 v111, v111, v159                             // 000000004B94: 0ADF3F6F
	v_pk_mul_f32 v[4:5], v[112:113], v[112:113]                // 000000004B98: D3B14004 1802E170
	v_pk_mul_f32 v[6:7], v[114:115], v[114:115]                // 000000004BA0: D3B14006 1802E572
	v_pk_fma_f32 v[4:5], v[4:5], s[78:79], v[8:9]              // 000000004BA8: D3B04004 1C209D04
	v_pk_fma_f32 v[6:7], v[6:7], s[78:79], v[8:9]              // 000000004BB0: D3B04006 1C209D06
	v_pk_mul_f32 v[4:5], v[4:5], v[112:113]                    // 000000004BB8: D3B14004 1802E104
	v_pk_mul_f32 v[6:7], v[6:7], v[114:115]                    // 000000004BC0: D3B14006 1802E506
	v_pk_mul_f32 v[4:5], v[4:5], s[60:61]                      // 000000004BC8: D3B14004 18007904
	v_pk_mul_f32 v[6:7], v[6:7], s[60:61]                      // 000000004BD0: D3B14006 18007906
	v_exp_f32_e32 v4, v4                                       // 000000004BD8: 7E084104
	v_exp_f32_e32 v5, v5                                       // 000000004BDC: 7E0A4105
	v_exp_f32_e32 v6, v6                                       // 000000004BE0: 7E0C4106
	v_exp_f32_e32 v7, v7                                       // 000000004BE4: 7E0E4107
	v_add_f32_e64 v4, v4, 1.0                                  // 000000004BE8: D1010004 0001E504
	v_add_f32_e64 v5, v5, 1.0                                  // 000000004BF0: D1010005 0001E505
	v_add_f32_e64 v6, v6, 1.0                                  // 000000004BF8: D1010006 0001E506
	v_add_f32_e64 v7, v7, 1.0                                  // 000000004C00: D1010007 0001E507
	v_rcp_f32_e32 v4, v4                                       // 000000004C08: 7E084504
	v_rcp_f32_e32 v5, v5                                       // 000000004C0C: 7E0A4505
	v_rcp_f32_e32 v6, v6                                       // 000000004C10: 7E0C4506
	v_rcp_f32_e32 v7, v7                                       // 000000004C14: 7E0E4507
	v_mul_f32_e32 v112, v112, v4                               // 000000004C18: 0AE00970
	v_mul_f32_e32 v113, v113, v5                               // 000000004C1C: 0AE20B71
	v_mul_f32_e32 v114, v114, v6                               // 000000004C20: 0AE40D72
	v_mul_f32_e32 v115, v115, v7                               // 000000004C24: 0AE60F73
	v_mul_f32_e32 v112, v112, v160                             // 000000004C28: 0AE14170
	v_mul_f32_e32 v113, v113, v161                             // 000000004C2C: 0AE34371
	v_mul_f32_e32 v114, v114, v162                             // 000000004C30: 0AE54572
	v_mul_f32_e32 v115, v115, v163                             // 000000004C34: 0AE74773
	s_branch label_0A0F                                        // 000000004C38: BF820180

0000000000004c3c <label_088F>:
	v_mul_f32_e64 v4, -v68, s6                                 // 000000004C3C: D1050004 20000D44
	v_mul_f32_e64 v5, -v69, s6                                 // 000000004C44: D1050005 20000D45
	v_mul_f32_e64 v6, -v70, s6                                 // 000000004C4C: D1050006 20000D46
	v_mul_f32_e64 v7, -v71, s6                                 // 000000004C54: D1050007 20000D47
	v_exp_f32_e32 v4, v4                                       // 000000004C5C: 7E084104
	v_exp_f32_e32 v5, v5                                       // 000000004C60: 7E0A4105
	v_exp_f32_e32 v6, v6                                       // 000000004C64: 7E0C4106
	v_exp_f32_e32 v7, v7                                       // 000000004C68: 7E0E4107
	v_add_f32_e64 v4, v4, 1.0                                  // 000000004C6C: D1010004 0001E504
	v_add_f32_e64 v5, v5, 1.0                                  // 000000004C74: D1010005 0001E505
	v_add_f32_e64 v6, v6, 1.0                                  // 000000004C7C: D1010006 0001E506
	v_add_f32_e64 v7, v7, 1.0                                  // 000000004C84: D1010007 0001E507
	v_rcp_f32_e32 v4, v4                                       // 000000004C8C: 7E084504
	v_rcp_f32_e32 v5, v5                                       // 000000004C90: 7E0A4505
	v_rcp_f32_e32 v6, v6                                       // 000000004C94: 7E0C4506
	v_rcp_f32_e32 v7, v7                                       // 000000004C98: 7E0E4507
	v_mul_f32_e32 v68, v68, v4                                 // 000000004C9C: 0A880944
	v_mul_f32_e32 v69, v69, v5                                 // 000000004CA0: 0A8A0B45
	v_mul_f32_e32 v70, v70, v6                                 // 000000004CA4: 0A8C0D46
	v_mul_f32_e32 v71, v71, v7                                 // 000000004CA8: 0A8E0F47
	v_mul_f32_e32 v68, v68, v116                               // 000000004CAC: 0A88E944
	v_mul_f32_e32 v69, v69, v117                               // 000000004CB0: 0A8AEB45
	v_mul_f32_e32 v70, v70, v118                               // 000000004CB4: 0A8CED46
	v_mul_f32_e32 v71, v71, v119                               // 000000004CB8: 0A8EEF47
	v_mul_f32_e64 v4, -v72, s6                                 // 000000004CBC: D1050004 20000D48
	v_mul_f32_e64 v5, -v73, s6                                 // 000000004CC4: D1050005 20000D49
	v_mul_f32_e64 v6, -v74, s6                                 // 000000004CCC: D1050006 20000D4A
	v_mul_f32_e64 v7, -v75, s6                                 // 000000004CD4: D1050007 20000D4B
	v_exp_f32_e32 v4, v4                                       // 000000004CDC: 7E084104
	v_exp_f32_e32 v5, v5                                       // 000000004CE0: 7E0A4105
	v_exp_f32_e32 v6, v6                                       // 000000004CE4: 7E0C4106
	v_exp_f32_e32 v7, v7                                       // 000000004CE8: 7E0E4107
	v_add_f32_e64 v4, v4, 1.0                                  // 000000004CEC: D1010004 0001E504
	v_add_f32_e64 v5, v5, 1.0                                  // 000000004CF4: D1010005 0001E505
	v_add_f32_e64 v6, v6, 1.0                                  // 000000004CFC: D1010006 0001E506
	v_add_f32_e64 v7, v7, 1.0                                  // 000000004D04: D1010007 0001E507
	v_rcp_f32_e32 v4, v4                                       // 000000004D0C: 7E084504
	v_rcp_f32_e32 v5, v5                                       // 000000004D10: 7E0A4505
	v_rcp_f32_e32 v6, v6                                       // 000000004D14: 7E0C4506
	v_rcp_f32_e32 v7, v7                                       // 000000004D18: 7E0E4507
	v_mul_f32_e32 v72, v72, v4                                 // 000000004D1C: 0A900948
	v_mul_f32_e32 v73, v73, v5                                 // 000000004D20: 0A920B49
	v_mul_f32_e32 v74, v74, v6                                 // 000000004D24: 0A940D4A
	v_mul_f32_e32 v75, v75, v7                                 // 000000004D28: 0A960F4B
	v_mul_f32_e32 v72, v72, v120                               // 000000004D2C: 0A90F148
	v_mul_f32_e32 v73, v73, v121                               // 000000004D30: 0A92F349
	v_mul_f32_e32 v74, v74, v122                               // 000000004D34: 0A94F54A
	v_mul_f32_e32 v75, v75, v123                               // 000000004D38: 0A96F74B
	v_mul_f32_e64 v4, -v76, s6                                 // 000000004D3C: D1050004 20000D4C
	v_mul_f32_e64 v5, -v77, s6                                 // 000000004D44: D1050005 20000D4D
	v_mul_f32_e64 v6, -v78, s6                                 // 000000004D4C: D1050006 20000D4E
	v_mul_f32_e64 v7, -v79, s6                                 // 000000004D54: D1050007 20000D4F
	v_exp_f32_e32 v4, v4                                       // 000000004D5C: 7E084104
	v_exp_f32_e32 v5, v5                                       // 000000004D60: 7E0A4105
	v_exp_f32_e32 v6, v6                                       // 000000004D64: 7E0C4106
	v_exp_f32_e32 v7, v7                                       // 000000004D68: 7E0E4107
	v_add_f32_e64 v4, v4, 1.0                                  // 000000004D6C: D1010004 0001E504
	v_add_f32_e64 v5, v5, 1.0                                  // 000000004D74: D1010005 0001E505
	v_add_f32_e64 v6, v6, 1.0                                  // 000000004D7C: D1010006 0001E506
	v_add_f32_e64 v7, v7, 1.0                                  // 000000004D84: D1010007 0001E507
	v_rcp_f32_e32 v4, v4                                       // 000000004D8C: 7E084504
	v_rcp_f32_e32 v5, v5                                       // 000000004D90: 7E0A4505
	v_rcp_f32_e32 v6, v6                                       // 000000004D94: 7E0C4506
	v_rcp_f32_e32 v7, v7                                       // 000000004D98: 7E0E4507
	v_mul_f32_e32 v76, v76, v4                                 // 000000004D9C: 0A98094C
	v_mul_f32_e32 v77, v77, v5                                 // 000000004DA0: 0A9A0B4D
	v_mul_f32_e32 v78, v78, v6                                 // 000000004DA4: 0A9C0D4E
	v_mul_f32_e32 v79, v79, v7                                 // 000000004DA8: 0A9E0F4F
	v_mul_f32_e32 v76, v76, v124                               // 000000004DAC: 0A98F94C
	v_mul_f32_e32 v77, v77, v125                               // 000000004DB0: 0A9AFB4D
	v_mul_f32_e32 v78, v78, v126                               // 000000004DB4: 0A9CFD4E
	v_mul_f32_e32 v79, v79, v127                               // 000000004DB8: 0A9EFF4F
	v_mul_f32_e64 v4, -v80, s6                                 // 000000004DBC: D1050004 20000D50
	v_mul_f32_e64 v5, -v81, s6                                 // 000000004DC4: D1050005 20000D51
	v_mul_f32_e64 v6, -v82, s6                                 // 000000004DCC: D1050006 20000D52
	v_mul_f32_e64 v7, -v83, s6                                 // 000000004DD4: D1050007 20000D53
	v_exp_f32_e32 v4, v4                                       // 000000004DDC: 7E084104
	v_exp_f32_e32 v5, v5                                       // 000000004DE0: 7E0A4105
	v_exp_f32_e32 v6, v6                                       // 000000004DE4: 7E0C4106
	v_exp_f32_e32 v7, v7                                       // 000000004DE8: 7E0E4107
	v_add_f32_e64 v4, v4, 1.0                                  // 000000004DEC: D1010004 0001E504
	v_add_f32_e64 v5, v5, 1.0                                  // 000000004DF4: D1010005 0001E505
	v_add_f32_e64 v6, v6, 1.0                                  // 000000004DFC: D1010006 0001E506
	v_add_f32_e64 v7, v7, 1.0                                  // 000000004E04: D1010007 0001E507
	v_rcp_f32_e32 v4, v4                                       // 000000004E0C: 7E084504
	v_rcp_f32_e32 v5, v5                                       // 000000004E10: 7E0A4505
	v_rcp_f32_e32 v6, v6                                       // 000000004E14: 7E0C4506
	v_rcp_f32_e32 v7, v7                                       // 000000004E18: 7E0E4507
	v_mul_f32_e32 v80, v80, v4                                 // 000000004E1C: 0AA00950
	v_mul_f32_e32 v81, v81, v5                                 // 000000004E20: 0AA20B51
	v_mul_f32_e32 v82, v82, v6                                 // 000000004E24: 0AA40D52
	v_mul_f32_e32 v83, v83, v7                                 // 000000004E28: 0AA60F53
	v_mul_f32_e32 v80, v80, v128                               // 000000004E2C: 0AA10150
	v_mul_f32_e32 v81, v81, v129                               // 000000004E30: 0AA30351
	v_mul_f32_e32 v82, v82, v130                               // 000000004E34: 0AA50552
	v_mul_f32_e32 v83, v83, v131                               // 000000004E38: 0AA70753
	v_mul_f32_e64 v4, -v84, s6                                 // 000000004E3C: D1050004 20000D54
	v_mul_f32_e64 v5, -v85, s6                                 // 000000004E44: D1050005 20000D55
	v_mul_f32_e64 v6, -v86, s6                                 // 000000004E4C: D1050006 20000D56
	v_mul_f32_e64 v7, -v87, s6                                 // 000000004E54: D1050007 20000D57
	v_exp_f32_e32 v4, v4                                       // 000000004E5C: 7E084104
	v_exp_f32_e32 v5, v5                                       // 000000004E60: 7E0A4105
	v_exp_f32_e32 v6, v6                                       // 000000004E64: 7E0C4106
	v_exp_f32_e32 v7, v7                                       // 000000004E68: 7E0E4107
	v_add_f32_e64 v4, v4, 1.0                                  // 000000004E6C: D1010004 0001E504
	v_add_f32_e64 v5, v5, 1.0                                  // 000000004E74: D1010005 0001E505
	v_add_f32_e64 v6, v6, 1.0                                  // 000000004E7C: D1010006 0001E506
	v_add_f32_e64 v7, v7, 1.0                                  // 000000004E84: D1010007 0001E507
	v_rcp_f32_e32 v4, v4                                       // 000000004E8C: 7E084504
	v_rcp_f32_e32 v5, v5                                       // 000000004E90: 7E0A4505
	v_rcp_f32_e32 v6, v6                                       // 000000004E94: 7E0C4506
	v_rcp_f32_e32 v7, v7                                       // 000000004E98: 7E0E4507
	v_mul_f32_e32 v84, v84, v4                                 // 000000004E9C: 0AA80954
	v_mul_f32_e32 v85, v85, v5                                 // 000000004EA0: 0AAA0B55
	v_mul_f32_e32 v86, v86, v6                                 // 000000004EA4: 0AAC0D56
	v_mul_f32_e32 v87, v87, v7                                 // 000000004EA8: 0AAE0F57
	v_mul_f32_e32 v84, v84, v132                               // 000000004EAC: 0AA90954
	v_mul_f32_e32 v85, v85, v133                               // 000000004EB0: 0AAB0B55
	v_mul_f32_e32 v86, v86, v134                               // 000000004EB4: 0AAD0D56
	v_mul_f32_e32 v87, v87, v135                               // 000000004EB8: 0AAF0F57
	v_mul_f32_e64 v4, -v88, s6                                 // 000000004EBC: D1050004 20000D58
	v_mul_f32_e64 v5, -v89, s6                                 // 000000004EC4: D1050005 20000D59
	v_mul_f32_e64 v6, -v90, s6                                 // 000000004ECC: D1050006 20000D5A
	v_mul_f32_e64 v7, -v91, s6                                 // 000000004ED4: D1050007 20000D5B
	v_exp_f32_e32 v4, v4                                       // 000000004EDC: 7E084104
	v_exp_f32_e32 v5, v5                                       // 000000004EE0: 7E0A4105
	v_exp_f32_e32 v6, v6                                       // 000000004EE4: 7E0C4106
	v_exp_f32_e32 v7, v7                                       // 000000004EE8: 7E0E4107
	v_add_f32_e64 v4, v4, 1.0                                  // 000000004EEC: D1010004 0001E504
	v_add_f32_e64 v5, v5, 1.0                                  // 000000004EF4: D1010005 0001E505
	v_add_f32_e64 v6, v6, 1.0                                  // 000000004EFC: D1010006 0001E506
	v_add_f32_e64 v7, v7, 1.0                                  // 000000004F04: D1010007 0001E507
	v_rcp_f32_e32 v4, v4                                       // 000000004F0C: 7E084504
	v_rcp_f32_e32 v5, v5                                       // 000000004F10: 7E0A4505
	v_rcp_f32_e32 v6, v6                                       // 000000004F14: 7E0C4506
	v_rcp_f32_e32 v7, v7                                       // 000000004F18: 7E0E4507
	v_mul_f32_e32 v88, v88, v4                                 // 000000004F1C: 0AB00958
	v_mul_f32_e32 v89, v89, v5                                 // 000000004F20: 0AB20B59
	v_mul_f32_e32 v90, v90, v6                                 // 000000004F24: 0AB40D5A
	v_mul_f32_e32 v91, v91, v7                                 // 000000004F28: 0AB60F5B
	v_mul_f32_e32 v88, v88, v136                               // 000000004F2C: 0AB11158
	v_mul_f32_e32 v89, v89, v137                               // 000000004F30: 0AB31359
	v_mul_f32_e32 v90, v90, v138                               // 000000004F34: 0AB5155A
	v_mul_f32_e32 v91, v91, v139                               // 000000004F38: 0AB7175B
	v_mul_f32_e64 v4, -v92, s6                                 // 000000004F3C: D1050004 20000D5C
	v_mul_f32_e64 v5, -v93, s6                                 // 000000004F44: D1050005 20000D5D
	v_mul_f32_e64 v6, -v94, s6                                 // 000000004F4C: D1050006 20000D5E
	v_mul_f32_e64 v7, -v95, s6                                 // 000000004F54: D1050007 20000D5F
	v_exp_f32_e32 v4, v4                                       // 000000004F5C: 7E084104
	v_exp_f32_e32 v5, v5                                       // 000000004F60: 7E0A4105
	v_exp_f32_e32 v6, v6                                       // 000000004F64: 7E0C4106
	v_exp_f32_e32 v7, v7                                       // 000000004F68: 7E0E4107
	v_add_f32_e64 v4, v4, 1.0                                  // 000000004F6C: D1010004 0001E504
	v_add_f32_e64 v5, v5, 1.0                                  // 000000004F74: D1010005 0001E505
	v_add_f32_e64 v6, v6, 1.0                                  // 000000004F7C: D1010006 0001E506
	v_add_f32_e64 v7, v7, 1.0                                  // 000000004F84: D1010007 0001E507
	v_rcp_f32_e32 v4, v4                                       // 000000004F8C: 7E084504
	v_rcp_f32_e32 v5, v5                                       // 000000004F90: 7E0A4505
	v_rcp_f32_e32 v6, v6                                       // 000000004F94: 7E0C4506
	v_rcp_f32_e32 v7, v7                                       // 000000004F98: 7E0E4507
	v_mul_f32_e32 v92, v92, v4                                 // 000000004F9C: 0AB8095C
	v_mul_f32_e32 v93, v93, v5                                 // 000000004FA0: 0ABA0B5D
	v_mul_f32_e32 v94, v94, v6                                 // 000000004FA4: 0ABC0D5E
	v_mul_f32_e32 v95, v95, v7                                 // 000000004FA8: 0ABE0F5F
	v_mul_f32_e32 v92, v92, v140                               // 000000004FAC: 0AB9195C
	v_mul_f32_e32 v93, v93, v141                               // 000000004FB0: 0ABB1B5D
	v_mul_f32_e32 v94, v94, v142                               // 000000004FB4: 0ABD1D5E
	v_mul_f32_e32 v95, v95, v143                               // 000000004FB8: 0ABF1F5F
	v_mul_f32_e64 v4, -v96, s6                                 // 000000004FBC: D1050004 20000D60
	v_mul_f32_e64 v5, -v97, s6                                 // 000000004FC4: D1050005 20000D61
	v_mul_f32_e64 v6, -v98, s6                                 // 000000004FCC: D1050006 20000D62
	v_mul_f32_e64 v7, -v99, s6                                 // 000000004FD4: D1050007 20000D63
	v_exp_f32_e32 v4, v4                                       // 000000004FDC: 7E084104
	v_exp_f32_e32 v5, v5                                       // 000000004FE0: 7E0A4105
	v_exp_f32_e32 v6, v6                                       // 000000004FE4: 7E0C4106
	v_exp_f32_e32 v7, v7                                       // 000000004FE8: 7E0E4107
	v_add_f32_e64 v4, v4, 1.0                                  // 000000004FEC: D1010004 0001E504
	v_add_f32_e64 v5, v5, 1.0                                  // 000000004FF4: D1010005 0001E505
	v_add_f32_e64 v6, v6, 1.0                                  // 000000004FFC: D1010006 0001E506
	v_add_f32_e64 v7, v7, 1.0                                  // 000000005004: D1010007 0001E507
	v_rcp_f32_e32 v4, v4                                       // 00000000500C: 7E084504
	v_rcp_f32_e32 v5, v5                                       // 000000005010: 7E0A4505
	v_rcp_f32_e32 v6, v6                                       // 000000005014: 7E0C4506
	v_rcp_f32_e32 v7, v7                                       // 000000005018: 7E0E4507
	v_mul_f32_e32 v96, v96, v4                                 // 00000000501C: 0AC00960
	v_mul_f32_e32 v97, v97, v5                                 // 000000005020: 0AC20B61
	v_mul_f32_e32 v98, v98, v6                                 // 000000005024: 0AC40D62
	v_mul_f32_e32 v99, v99, v7                                 // 000000005028: 0AC60F63
	v_mul_f32_e32 v96, v96, v144                               // 00000000502C: 0AC12160
	v_mul_f32_e32 v97, v97, v145                               // 000000005030: 0AC32361
	v_mul_f32_e32 v98, v98, v146                               // 000000005034: 0AC52562
	v_mul_f32_e32 v99, v99, v147                               // 000000005038: 0AC72763
	v_mul_f32_e64 v4, -v100, s6                                // 00000000503C: D1050004 20000D64
	v_mul_f32_e64 v5, -v101, s6                                // 000000005044: D1050005 20000D65
	v_mul_f32_e64 v6, -v102, s6                                // 00000000504C: D1050006 20000D66
	v_mul_f32_e64 v7, -v103, s6                                // 000000005054: D1050007 20000D67
	v_exp_f32_e32 v4, v4                                       // 00000000505C: 7E084104
	v_exp_f32_e32 v5, v5                                       // 000000005060: 7E0A4105
	v_exp_f32_e32 v6, v6                                       // 000000005064: 7E0C4106
	v_exp_f32_e32 v7, v7                                       // 000000005068: 7E0E4107
	v_add_f32_e64 v4, v4, 1.0                                  // 00000000506C: D1010004 0001E504
	v_add_f32_e64 v5, v5, 1.0                                  // 000000005074: D1010005 0001E505
	v_add_f32_e64 v6, v6, 1.0                                  // 00000000507C: D1010006 0001E506
	v_add_f32_e64 v7, v7, 1.0                                  // 000000005084: D1010007 0001E507
	v_rcp_f32_e32 v4, v4                                       // 00000000508C: 7E084504
	v_rcp_f32_e32 v5, v5                                       // 000000005090: 7E0A4505
	v_rcp_f32_e32 v6, v6                                       // 000000005094: 7E0C4506
	v_rcp_f32_e32 v7, v7                                       // 000000005098: 7E0E4507
	v_mul_f32_e32 v100, v100, v4                               // 00000000509C: 0AC80964
	v_mul_f32_e32 v101, v101, v5                               // 0000000050A0: 0ACA0B65
	v_mul_f32_e32 v102, v102, v6                               // 0000000050A4: 0ACC0D66
	v_mul_f32_e32 v103, v103, v7                               // 0000000050A8: 0ACE0F67
	v_mul_f32_e32 v100, v100, v148                             // 0000000050AC: 0AC92964
	v_mul_f32_e32 v101, v101, v149                             // 0000000050B0: 0ACB2B65
	v_mul_f32_e32 v102, v102, v150                             // 0000000050B4: 0ACD2D66
	v_mul_f32_e32 v103, v103, v151                             // 0000000050B8: 0ACF2F67
	v_mul_f32_e64 v4, -v104, s6                                // 0000000050BC: D1050004 20000D68
	v_mul_f32_e64 v5, -v105, s6                                // 0000000050C4: D1050005 20000D69
	v_mul_f32_e64 v6, -v106, s6                                // 0000000050CC: D1050006 20000D6A
	v_mul_f32_e64 v7, -v107, s6                                // 0000000050D4: D1050007 20000D6B
	v_exp_f32_e32 v4, v4                                       // 0000000050DC: 7E084104
	v_exp_f32_e32 v5, v5                                       // 0000000050E0: 7E0A4105
	v_exp_f32_e32 v6, v6                                       // 0000000050E4: 7E0C4106
	v_exp_f32_e32 v7, v7                                       // 0000000050E8: 7E0E4107
	v_add_f32_e64 v4, v4, 1.0                                  // 0000000050EC: D1010004 0001E504
	v_add_f32_e64 v5, v5, 1.0                                  // 0000000050F4: D1010005 0001E505
	v_add_f32_e64 v6, v6, 1.0                                  // 0000000050FC: D1010006 0001E506
	v_add_f32_e64 v7, v7, 1.0                                  // 000000005104: D1010007 0001E507
	v_rcp_f32_e32 v4, v4                                       // 00000000510C: 7E084504
	v_rcp_f32_e32 v5, v5                                       // 000000005110: 7E0A4505
	v_rcp_f32_e32 v6, v6                                       // 000000005114: 7E0C4506
	v_rcp_f32_e32 v7, v7                                       // 000000005118: 7E0E4507
	v_mul_f32_e32 v104, v104, v4                               // 00000000511C: 0AD00968
	v_mul_f32_e32 v105, v105, v5                               // 000000005120: 0AD20B69
	v_mul_f32_e32 v106, v106, v6                               // 000000005124: 0AD40D6A
	v_mul_f32_e32 v107, v107, v7                               // 000000005128: 0AD60F6B
	v_mul_f32_e32 v104, v104, v152                             // 00000000512C: 0AD13168
	v_mul_f32_e32 v105, v105, v153                             // 000000005130: 0AD33369
	v_mul_f32_e32 v106, v106, v154                             // 000000005134: 0AD5356A
	v_mul_f32_e32 v107, v107, v155                             // 000000005138: 0AD7376B
	v_mul_f32_e64 v4, -v108, s6                                // 00000000513C: D1050004 20000D6C
	v_mul_f32_e64 v5, -v109, s6                                // 000000005144: D1050005 20000D6D
	v_mul_f32_e64 v6, -v110, s6                                // 00000000514C: D1050006 20000D6E
	v_mul_f32_e64 v7, -v111, s6                                // 000000005154: D1050007 20000D6F
	v_exp_f32_e32 v4, v4                                       // 00000000515C: 7E084104
	v_exp_f32_e32 v5, v5                                       // 000000005160: 7E0A4105
	v_exp_f32_e32 v6, v6                                       // 000000005164: 7E0C4106
	v_exp_f32_e32 v7, v7                                       // 000000005168: 7E0E4107
	v_add_f32_e64 v4, v4, 1.0                                  // 00000000516C: D1010004 0001E504
	v_add_f32_e64 v5, v5, 1.0                                  // 000000005174: D1010005 0001E505
	v_add_f32_e64 v6, v6, 1.0                                  // 00000000517C: D1010006 0001E506
	v_add_f32_e64 v7, v7, 1.0                                  // 000000005184: D1010007 0001E507
	v_rcp_f32_e32 v4, v4                                       // 00000000518C: 7E084504
	v_rcp_f32_e32 v5, v5                                       // 000000005190: 7E0A4505
	v_rcp_f32_e32 v6, v6                                       // 000000005194: 7E0C4506
	v_rcp_f32_e32 v7, v7                                       // 000000005198: 7E0E4507
	v_mul_f32_e32 v108, v108, v4                               // 00000000519C: 0AD8096C
	v_mul_f32_e32 v109, v109, v5                               // 0000000051A0: 0ADA0B6D
	v_mul_f32_e32 v110, v110, v6                               // 0000000051A4: 0ADC0D6E
	v_mul_f32_e32 v111, v111, v7                               // 0000000051A8: 0ADE0F6F
	v_mul_f32_e32 v108, v108, v156                             // 0000000051AC: 0AD9396C
	v_mul_f32_e32 v109, v109, v157                             // 0000000051B0: 0ADB3B6D
	v_mul_f32_e32 v110, v110, v158                             // 0000000051B4: 0ADD3D6E
	v_mul_f32_e32 v111, v111, v159                             // 0000000051B8: 0ADF3F6F
	v_mul_f32_e64 v4, -v112, s6                                // 0000000051BC: D1050004 20000D70
	v_mul_f32_e64 v5, -v113, s6                                // 0000000051C4: D1050005 20000D71
	v_mul_f32_e64 v6, -v114, s6                                // 0000000051CC: D1050006 20000D72
	v_mul_f32_e64 v7, -v115, s6                                // 0000000051D4: D1050007 20000D73
	v_exp_f32_e32 v4, v4                                       // 0000000051DC: 7E084104
	v_exp_f32_e32 v5, v5                                       // 0000000051E0: 7E0A4105
	v_exp_f32_e32 v6, v6                                       // 0000000051E4: 7E0C4106
	v_exp_f32_e32 v7, v7                                       // 0000000051E8: 7E0E4107
	v_add_f32_e64 v4, v4, 1.0                                  // 0000000051EC: D1010004 0001E504
	v_add_f32_e64 v5, v5, 1.0                                  // 0000000051F4: D1010005 0001E505
	v_add_f32_e64 v6, v6, 1.0                                  // 0000000051FC: D1010006 0001E506
	v_add_f32_e64 v7, v7, 1.0                                  // 000000005204: D1010007 0001E507
	v_rcp_f32_e32 v4, v4                                       // 00000000520C: 7E084504
	v_rcp_f32_e32 v5, v5                                       // 000000005210: 7E0A4505
	v_rcp_f32_e32 v6, v6                                       // 000000005214: 7E0C4506
	v_rcp_f32_e32 v7, v7                                       // 000000005218: 7E0E4507
	v_mul_f32_e32 v112, v112, v4                               // 00000000521C: 0AE00970
	v_mul_f32_e32 v113, v113, v5                               // 000000005220: 0AE20B71
	v_mul_f32_e32 v114, v114, v6                               // 000000005224: 0AE40D72
	v_mul_f32_e32 v115, v115, v7                               // 000000005228: 0AE60F73
	v_mul_f32_e32 v112, v112, v160                             // 00000000522C: 0AE14170
	v_mul_f32_e32 v113, v113, v161                             // 000000005230: 0AE34371
	v_mul_f32_e32 v114, v114, v162                             // 000000005234: 0AE54572
	v_mul_f32_e32 v115, v115, v163                             // 000000005238: 0AE74773

000000000000523c <label_0A0F>:
	v_cmp_u_f32_e64 s[46:47], v68, v68                         // 00000000523C: D048002E 00028944
	v_add3_u32 v16, v68, v19, 1                                // 000000005244: D1FF0010 02062744
	v_cndmask_b32_e64 v4, v16, v18, s[46:47]                   // 00000000524C: D1000004 00BA2510
	v_cmp_u_f32_e64 s[46:47], v69, v69                         // 000000005254: D048002E 00028B45
	v_add3_u32 v16, v69, v19, 1                                // 00000000525C: D1FF0010 02062745
	v_cndmask_b32_e64 v5, v16, v18, s[46:47]                   // 000000005264: D1000005 00BA2510
	v_perm_b32 v68, v5, v4, s52                                // 00000000526C: D1ED0044 00D20905
	v_cmp_u_f32_e64 s[46:47], v70, v70                         // 000000005274: D048002E 00028D46
	v_add3_u32 v16, v70, v19, 1                                // 00000000527C: D1FF0010 02062746
	v_cndmask_b32_e64 v4, v16, v18, s[46:47]                   // 000000005284: D1000004 00BA2510
	v_cmp_u_f32_e64 s[46:47], v71, v71                         // 00000000528C: D048002E 00028F47
	v_add3_u32 v16, v71, v19, 1                                // 000000005294: D1FF0010 02062747
	v_cndmask_b32_e64 v5, v16, v18, s[46:47]                   // 00000000529C: D1000005 00BA2510
	v_perm_b32 v69, v5, v4, s52                                // 0000000052A4: D1ED0045 00D20905
	v_cmp_u_f32_e64 s[46:47], v72, v72                         // 0000000052AC: D048002E 00029148
	v_add3_u32 v16, v72, v19, 1                                // 0000000052B4: D1FF0010 02062748
	v_cndmask_b32_e64 v4, v16, v18, s[46:47]                   // 0000000052BC: D1000004 00BA2510
	v_cmp_u_f32_e64 s[46:47], v73, v73                         // 0000000052C4: D048002E 00029349
	v_add3_u32 v16, v73, v19, 1                                // 0000000052CC: D1FF0010 02062749
	v_cndmask_b32_e64 v5, v16, v18, s[46:47]                   // 0000000052D4: D1000005 00BA2510
	v_perm_b32 v70, v5, v4, s52                                // 0000000052DC: D1ED0046 00D20905
	v_cmp_u_f32_e64 s[46:47], v74, v74                         // 0000000052E4: D048002E 0002954A
	v_add3_u32 v16, v74, v19, 1                                // 0000000052EC: D1FF0010 0206274A
	v_cndmask_b32_e64 v4, v16, v18, s[46:47]                   // 0000000052F4: D1000004 00BA2510
	v_cmp_u_f32_e64 s[46:47], v75, v75                         // 0000000052FC: D048002E 0002974B
	v_add3_u32 v16, v75, v19, 1                                // 000000005304: D1FF0010 0206274B
	v_cndmask_b32_e64 v5, v16, v18, s[46:47]                   // 00000000530C: D1000005 00BA2510
	v_perm_b32 v71, v5, v4, s52                                // 000000005314: D1ED0047 00D20905
	v_cmp_u_f32_e64 s[46:47], v76, v76                         // 00000000531C: D048002E 0002994C
	v_add3_u32 v16, v76, v19, 1                                // 000000005324: D1FF0010 0206274C
	v_cndmask_b32_e64 v4, v16, v18, s[46:47]                   // 00000000532C: D1000004 00BA2510
	v_cmp_u_f32_e64 s[46:47], v77, v77                         // 000000005334: D048002E 00029B4D
	v_add3_u32 v16, v77, v19, 1                                // 00000000533C: D1FF0010 0206274D
	v_cndmask_b32_e64 v5, v16, v18, s[46:47]                   // 000000005344: D1000005 00BA2510
	v_perm_b32 v72, v5, v4, s52                                // 00000000534C: D1ED0048 00D20905
	v_cmp_u_f32_e64 s[46:47], v78, v78                         // 000000005354: D048002E 00029D4E
	v_add3_u32 v16, v78, v19, 1                                // 00000000535C: D1FF0010 0206274E
	v_cndmask_b32_e64 v4, v16, v18, s[46:47]                   // 000000005364: D1000004 00BA2510
	v_cmp_u_f32_e64 s[46:47], v79, v79                         // 00000000536C: D048002E 00029F4F
	v_add3_u32 v16, v79, v19, 1                                // 000000005374: D1FF0010 0206274F
	v_cndmask_b32_e64 v5, v16, v18, s[46:47]                   // 00000000537C: D1000005 00BA2510
	v_perm_b32 v73, v5, v4, s52                                // 000000005384: D1ED0049 00D20905
	v_cmp_u_f32_e64 s[46:47], v80, v80                         // 00000000538C: D048002E 0002A150
	v_add3_u32 v16, v80, v19, 1                                // 000000005394: D1FF0010 02062750
	v_cndmask_b32_e64 v4, v16, v18, s[46:47]                   // 00000000539C: D1000004 00BA2510
	v_cmp_u_f32_e64 s[46:47], v81, v81                         // 0000000053A4: D048002E 0002A351
	v_add3_u32 v16, v81, v19, 1                                // 0000000053AC: D1FF0010 02062751
	v_cndmask_b32_e64 v5, v16, v18, s[46:47]                   // 0000000053B4: D1000005 00BA2510
	v_perm_b32 v74, v5, v4, s52                                // 0000000053BC: D1ED004A 00D20905
	v_cmp_u_f32_e64 s[46:47], v82, v82                         // 0000000053C4: D048002E 0002A552
	v_add3_u32 v16, v82, v19, 1                                // 0000000053CC: D1FF0010 02062752
	v_cndmask_b32_e64 v4, v16, v18, s[46:47]                   // 0000000053D4: D1000004 00BA2510
	v_cmp_u_f32_e64 s[46:47], v83, v83                         // 0000000053DC: D048002E 0002A753
	v_add3_u32 v16, v83, v19, 1                                // 0000000053E4: D1FF0010 02062753
	v_cndmask_b32_e64 v5, v16, v18, s[46:47]                   // 0000000053EC: D1000005 00BA2510
	v_perm_b32 v75, v5, v4, s52                                // 0000000053F4: D1ED004B 00D20905
	v_cmp_u_f32_e64 s[46:47], v84, v84                         // 0000000053FC: D048002E 0002A954
	v_add3_u32 v16, v84, v19, 1                                // 000000005404: D1FF0010 02062754
	v_cndmask_b32_e64 v4, v16, v18, s[46:47]                   // 00000000540C: D1000004 00BA2510
	v_cmp_u_f32_e64 s[46:47], v85, v85                         // 000000005414: D048002E 0002AB55
	v_add3_u32 v16, v85, v19, 1                                // 00000000541C: D1FF0010 02062755
	v_cndmask_b32_e64 v5, v16, v18, s[46:47]                   // 000000005424: D1000005 00BA2510
	v_perm_b32 v76, v5, v4, s52                                // 00000000542C: D1ED004C 00D20905
	v_cmp_u_f32_e64 s[46:47], v86, v86                         // 000000005434: D048002E 0002AD56
	v_add3_u32 v16, v86, v19, 1                                // 00000000543C: D1FF0010 02062756
	v_cndmask_b32_e64 v4, v16, v18, s[46:47]                   // 000000005444: D1000004 00BA2510
	v_cmp_u_f32_e64 s[46:47], v87, v87                         // 00000000544C: D048002E 0002AF57
	v_add3_u32 v16, v87, v19, 1                                // 000000005454: D1FF0010 02062757
	v_cndmask_b32_e64 v5, v16, v18, s[46:47]                   // 00000000545C: D1000005 00BA2510
	v_perm_b32 v77, v5, v4, s52                                // 000000005464: D1ED004D 00D20905
	v_cmp_u_f32_e64 s[46:47], v88, v88                         // 00000000546C: D048002E 0002B158
	v_add3_u32 v16, v88, v19, 1                                // 000000005474: D1FF0010 02062758
	v_cndmask_b32_e64 v4, v16, v18, s[46:47]                   // 00000000547C: D1000004 00BA2510
	v_cmp_u_f32_e64 s[46:47], v89, v89                         // 000000005484: D048002E 0002B359
	v_add3_u32 v16, v89, v19, 1                                // 00000000548C: D1FF0010 02062759
	v_cndmask_b32_e64 v5, v16, v18, s[46:47]                   // 000000005494: D1000005 00BA2510
	v_perm_b32 v78, v5, v4, s52                                // 00000000549C: D1ED004E 00D20905
	v_cmp_u_f32_e64 s[46:47], v90, v90                         // 0000000054A4: D048002E 0002B55A
	v_add3_u32 v16, v90, v19, 1                                // 0000000054AC: D1FF0010 0206275A
	v_cndmask_b32_e64 v4, v16, v18, s[46:47]                   // 0000000054B4: D1000004 00BA2510
	v_cmp_u_f32_e64 s[46:47], v91, v91                         // 0000000054BC: D048002E 0002B75B
	v_add3_u32 v16, v91, v19, 1                                // 0000000054C4: D1FF0010 0206275B
	v_cndmask_b32_e64 v5, v16, v18, s[46:47]                   // 0000000054CC: D1000005 00BA2510
	v_perm_b32 v79, v5, v4, s52                                // 0000000054D4: D1ED004F 00D20905
	v_cmp_u_f32_e64 s[46:47], v92, v92                         // 0000000054DC: D048002E 0002B95C
	v_add3_u32 v16, v92, v19, 1                                // 0000000054E4: D1FF0010 0206275C
	v_cndmask_b32_e64 v4, v16, v18, s[46:47]                   // 0000000054EC: D1000004 00BA2510
	v_cmp_u_f32_e64 s[46:47], v93, v93                         // 0000000054F4: D048002E 0002BB5D
	v_add3_u32 v16, v93, v19, 1                                // 0000000054FC: D1FF0010 0206275D
	v_cndmask_b32_e64 v5, v16, v18, s[46:47]                   // 000000005504: D1000005 00BA2510
	v_perm_b32 v80, v5, v4, s52                                // 00000000550C: D1ED0050 00D20905
	v_cmp_u_f32_e64 s[46:47], v94, v94                         // 000000005514: D048002E 0002BD5E
	v_add3_u32 v16, v94, v19, 1                                // 00000000551C: D1FF0010 0206275E
	v_cndmask_b32_e64 v4, v16, v18, s[46:47]                   // 000000005524: D1000004 00BA2510
	v_cmp_u_f32_e64 s[46:47], v95, v95                         // 00000000552C: D048002E 0002BF5F
	v_add3_u32 v16, v95, v19, 1                                // 000000005534: D1FF0010 0206275F
	v_cndmask_b32_e64 v5, v16, v18, s[46:47]                   // 00000000553C: D1000005 00BA2510
	v_perm_b32 v81, v5, v4, s52                                // 000000005544: D1ED0051 00D20905
	v_cmp_u_f32_e64 s[46:47], v96, v96                         // 00000000554C: D048002E 0002C160
	v_add3_u32 v16, v96, v19, 1                                // 000000005554: D1FF0010 02062760
	v_cndmask_b32_e64 v4, v16, v18, s[46:47]                   // 00000000555C: D1000004 00BA2510
	v_cmp_u_f32_e64 s[46:47], v97, v97                         // 000000005564: D048002E 0002C361
	v_add3_u32 v16, v97, v19, 1                                // 00000000556C: D1FF0010 02062761
	v_cndmask_b32_e64 v5, v16, v18, s[46:47]                   // 000000005574: D1000005 00BA2510
	v_perm_b32 v82, v5, v4, s52                                // 00000000557C: D1ED0052 00D20905
	v_cmp_u_f32_e64 s[46:47], v98, v98                         // 000000005584: D048002E 0002C562
	v_add3_u32 v16, v98, v19, 1                                // 00000000558C: D1FF0010 02062762
	v_cndmask_b32_e64 v4, v16, v18, s[46:47]                   // 000000005594: D1000004 00BA2510
	v_cmp_u_f32_e64 s[46:47], v99, v99                         // 00000000559C: D048002E 0002C763
	v_add3_u32 v16, v99, v19, 1                                // 0000000055A4: D1FF0010 02062763
	v_cndmask_b32_e64 v5, v16, v18, s[46:47]                   // 0000000055AC: D1000005 00BA2510
	v_perm_b32 v83, v5, v4, s52                                // 0000000055B4: D1ED0053 00D20905
	v_cmp_u_f32_e64 s[46:47], v100, v100                       // 0000000055BC: D048002E 0002C964
	v_add3_u32 v16, v100, v19, 1                               // 0000000055C4: D1FF0010 02062764
	v_cndmask_b32_e64 v4, v16, v18, s[46:47]                   // 0000000055CC: D1000004 00BA2510
	v_cmp_u_f32_e64 s[46:47], v101, v101                       // 0000000055D4: D048002E 0002CB65
	v_add3_u32 v16, v101, v19, 1                               // 0000000055DC: D1FF0010 02062765
	v_cndmask_b32_e64 v5, v16, v18, s[46:47]                   // 0000000055E4: D1000005 00BA2510
	v_perm_b32 v84, v5, v4, s52                                // 0000000055EC: D1ED0054 00D20905
	v_cmp_u_f32_e64 s[46:47], v102, v102                       // 0000000055F4: D048002E 0002CD66
	v_add3_u32 v16, v102, v19, 1                               // 0000000055FC: D1FF0010 02062766
	v_cndmask_b32_e64 v4, v16, v18, s[46:47]                   // 000000005604: D1000004 00BA2510
	v_cmp_u_f32_e64 s[46:47], v103, v103                       // 00000000560C: D048002E 0002CF67
	v_add3_u32 v16, v103, v19, 1                               // 000000005614: D1FF0010 02062767
	v_cndmask_b32_e64 v5, v16, v18, s[46:47]                   // 00000000561C: D1000005 00BA2510
	v_perm_b32 v85, v5, v4, s52                                // 000000005624: D1ED0055 00D20905
	v_cmp_u_f32_e64 s[46:47], v104, v104                       // 00000000562C: D048002E 0002D168
	v_add3_u32 v16, v104, v19, 1                               // 000000005634: D1FF0010 02062768
	v_cndmask_b32_e64 v4, v16, v18, s[46:47]                   // 00000000563C: D1000004 00BA2510
	v_cmp_u_f32_e64 s[46:47], v105, v105                       // 000000005644: D048002E 0002D369
	v_add3_u32 v16, v105, v19, 1                               // 00000000564C: D1FF0010 02062769
	v_cndmask_b32_e64 v5, v16, v18, s[46:47]                   // 000000005654: D1000005 00BA2510
	v_perm_b32 v86, v5, v4, s52                                // 00000000565C: D1ED0056 00D20905
	v_cmp_u_f32_e64 s[46:47], v106, v106                       // 000000005664: D048002E 0002D56A
	v_add3_u32 v16, v106, v19, 1                               // 00000000566C: D1FF0010 0206276A
	v_cndmask_b32_e64 v4, v16, v18, s[46:47]                   // 000000005674: D1000004 00BA2510
	v_cmp_u_f32_e64 s[46:47], v107, v107                       // 00000000567C: D048002E 0002D76B
	v_add3_u32 v16, v107, v19, 1                               // 000000005684: D1FF0010 0206276B
	v_cndmask_b32_e64 v5, v16, v18, s[46:47]                   // 00000000568C: D1000005 00BA2510
	v_perm_b32 v87, v5, v4, s52                                // 000000005694: D1ED0057 00D20905
	v_cmp_u_f32_e64 s[46:47], v108, v108                       // 00000000569C: D048002E 0002D96C
	v_add3_u32 v16, v108, v19, 1                               // 0000000056A4: D1FF0010 0206276C
	v_cndmask_b32_e64 v4, v16, v18, s[46:47]                   // 0000000056AC: D1000004 00BA2510
	v_cmp_u_f32_e64 s[46:47], v109, v109                       // 0000000056B4: D048002E 0002DB6D
	v_add3_u32 v16, v109, v19, 1                               // 0000000056BC: D1FF0010 0206276D
	v_cndmask_b32_e64 v5, v16, v18, s[46:47]                   // 0000000056C4: D1000005 00BA2510
	v_perm_b32 v88, v5, v4, s52                                // 0000000056CC: D1ED0058 00D20905
	v_cmp_u_f32_e64 s[46:47], v110, v110                       // 0000000056D4: D048002E 0002DD6E
	v_add3_u32 v16, v110, v19, 1                               // 0000000056DC: D1FF0010 0206276E
	v_cndmask_b32_e64 v4, v16, v18, s[46:47]                   // 0000000056E4: D1000004 00BA2510
	v_cmp_u_f32_e64 s[46:47], v111, v111                       // 0000000056EC: D048002E 0002DF6F
	v_add3_u32 v16, v111, v19, 1                               // 0000000056F4: D1FF0010 0206276F
	v_cndmask_b32_e64 v5, v16, v18, s[46:47]                   // 0000000056FC: D1000005 00BA2510
	v_perm_b32 v89, v5, v4, s52                                // 000000005704: D1ED0059 00D20905
	v_cmp_u_f32_e64 s[46:47], v112, v112                       // 00000000570C: D048002E 0002E170
	v_add3_u32 v16, v112, v19, 1                               // 000000005714: D1FF0010 02062770
	v_cndmask_b32_e64 v4, v16, v18, s[46:47]                   // 00000000571C: D1000004 00BA2510
	v_cmp_u_f32_e64 s[46:47], v113, v113                       // 000000005724: D048002E 0002E371
	v_add3_u32 v16, v113, v19, 1                               // 00000000572C: D1FF0010 02062771
	v_cndmask_b32_e64 v5, v16, v18, s[46:47]                   // 000000005734: D1000005 00BA2510
	v_perm_b32 v90, v5, v4, s52                                // 00000000573C: D1ED005A 00D20905
	v_cmp_u_f32_e64 s[46:47], v114, v114                       // 000000005744: D048002E 0002E572
	v_add3_u32 v16, v114, v19, 1                               // 00000000574C: D1FF0010 02062772
	v_cndmask_b32_e64 v4, v16, v18, s[46:47]                   // 000000005754: D1000004 00BA2510
	v_cmp_u_f32_e64 s[46:47], v115, v115                       // 00000000575C: D048002E 0002E773
	v_add3_u32 v16, v115, v19, 1                               // 000000005764: D1FF0010 02062773
	v_cndmask_b32_e64 v5, v16, v18, s[46:47]                   // 00000000576C: D1000005 00BA2510
	v_perm_b32 v91, v5, v4, s52                                // 000000005774: D1ED005B 00D20905
	ds_write_b64 v20, v[68:69]                                 // 00000000577C: D89A0000 00004414
	ds_write_b64 v20, v[70:71] offset:4352                     // 000000005784: D89A1100 00004614
	ds_write_b64 v20, v[72:73] offset:8704                     // 00000000578C: D89A2200 00004814
	ds_write_b64 v20, v[74:75] offset:13056                    // 000000005794: D89A3300 00004A14
	ds_write_b64 v20, v[76:77] offset:17408                    // 00000000579C: D89A4400 00004C14
	ds_write_b64 v20, v[78:79] offset:21760                    // 0000000057A4: D89A5500 00004E14
	ds_write_b64 v20, v[80:81] offset:2176                     // 0000000057AC: D89A0880 00005014
	ds_write_b64 v20, v[82:83] offset:6528                     // 0000000057B4: D89A1980 00005214
	ds_write_b64 v20, v[84:85] offset:10880                    // 0000000057BC: D89A2A80 00005414
	ds_write_b64 v20, v[86:87] offset:15232                    // 0000000057C4: D89A3B80 00005614
	ds_write_b64 v20, v[88:89] offset:19584                    // 0000000057CC: D89A4C80 00005814
	ds_write_b64 v20, v[90:91] offset:23936                    // 0000000057D4: D89A5D80 00005A14
	v_lshrrev_b32_e32 v4, 5, v0                                // 0000000057DC: 20080085
	v_xor_b32_e32 v5, 1, v4                                    // 0000000057E0: 2A0A0881
	s_mul_i32 s60, s65, 2                                      // 0000000057E4: 923C8241
	s_cmp_eq_u32 s88, 0                                        // 0000000057E8: BF068058
	s_cselect_b32 s61, 1, 4                                    // 0000000057EC: 853D8481
	s_mul_i32 s60, s61, s60                                    // 0000000057F0: 923C3C3D
	v_readlane_b32 s82, v3, 0                                  // 0000000057F4: D2890052 00010103
	s_lshr_b32 s61, s82, 24                                    // 0000000057FC: 8F3D9852
	s_and_b32 s82, s82, 0xffffff                               // 000000005800: 8652FF52 00FFFFFF
	s_mul_i32 s82, s82, s71                                    // 000000005808: 92524752
	s_mul_i32 s61, s60, s61                                    // 00000000580C: 923D3D3C
	s_add_u32 s82, s82, s61                                    // 000000005810: 80523D52
	v_mul_lo_u32 v6, v5, s82                                   // 000000005814: D2850006 0000A505
	v_readlane_b32 s82, v3, 1                                  // 00000000581C: D2890052 00010303
	s_lshr_b32 s61, s82, 24                                    // 000000005824: 8F3D9852
	s_and_b32 s82, s82, 0xffffff                               // 000000005828: 8652FF52 00FFFFFF
	s_mul_i32 s82, s82, s71                                    // 000000005830: 92524752
	s_mul_i32 s61, s60, s61                                    // 000000005834: 923D3D3C
	s_add_u32 s82, s82, s61                                    // 000000005838: 80523D52
	v_mul_lo_u32 v7, v4, s82                                   // 00000000583C: D2850007 0000A504
	v_add_u32_e32 v52, v6, v7                                  // 000000005844: 68680F06
	v_readlane_b32 s82, v3, 2                                  // 000000005848: D2890052 00010503
	s_lshr_b32 s61, s82, 24                                    // 000000005850: 8F3D9852
	s_and_b32 s82, s82, 0xffffff                               // 000000005854: 8652FF52 00FFFFFF
	s_mul_i32 s82, s82, s71                                    // 00000000585C: 92524752
	s_mul_i32 s61, s60, s61                                    // 000000005860: 923D3D3C
	s_add_u32 s82, s82, s61                                    // 000000005864: 80523D52
	v_mul_lo_u32 v6, v5, s82                                   // 000000005868: D2850006 0000A505
	v_readlane_b32 s82, v3, 3                                  // 000000005870: D2890052 00010703
	s_lshr_b32 s61, s82, 24                                    // 000000005878: 8F3D9852
	s_and_b32 s82, s82, 0xffffff                               // 00000000587C: 8652FF52 00FFFFFF
	s_mul_i32 s82, s82, s71                                    // 000000005884: 92524752
	s_mul_i32 s61, s60, s61                                    // 000000005888: 923D3D3C
	s_add_u32 s82, s82, s61                                    // 00000000588C: 80523D52
	v_mul_lo_u32 v7, v4, s82                                   // 000000005890: D2850007 0000A504
	v_add_u32_e32 v53, v6, v7                                  // 000000005898: 686A0F06
	v_readlane_b32 s82, v3, 4                                  // 00000000589C: D2890052 00010903
	s_lshr_b32 s61, s82, 24                                    // 0000000058A4: 8F3D9852
	s_and_b32 s82, s82, 0xffffff                               // 0000000058A8: 8652FF52 00FFFFFF
	s_mul_i32 s82, s82, s71                                    // 0000000058B0: 92524752
	s_mul_i32 s61, s60, s61                                    // 0000000058B4: 923D3D3C
	s_add_u32 s82, s82, s61                                    // 0000000058B8: 80523D52
	v_mul_lo_u32 v6, v5, s82                                   // 0000000058BC: D2850006 0000A505
	v_readlane_b32 s82, v3, 5                                  // 0000000058C4: D2890052 00010B03
	s_lshr_b32 s61, s82, 24                                    // 0000000058CC: 8F3D9852
	s_and_b32 s82, s82, 0xffffff                               // 0000000058D0: 8652FF52 00FFFFFF
	s_mul_i32 s82, s82, s71                                    // 0000000058D8: 92524752
	s_mul_i32 s61, s60, s61                                    // 0000000058DC: 923D3D3C
	s_add_u32 s82, s82, s61                                    // 0000000058E0: 80523D52
	v_mul_lo_u32 v7, v4, s82                                   // 0000000058E4: D2850007 0000A504
	v_add_u32_e32 v54, v6, v7                                  // 0000000058EC: 686C0F06
	v_readlane_b32 s82, v3, 6                                  // 0000000058F0: D2890052 00010D03
	s_lshr_b32 s61, s82, 24                                    // 0000000058F8: 8F3D9852
	s_and_b32 s82, s82, 0xffffff                               // 0000000058FC: 8652FF52 00FFFFFF
	s_mul_i32 s82, s82, s71                                    // 000000005904: 92524752
	s_mul_i32 s61, s60, s61                                    // 000000005908: 923D3D3C
	s_add_u32 s82, s82, s61                                    // 00000000590C: 80523D52
	v_mul_lo_u32 v6, v5, s82                                   // 000000005910: D2850006 0000A505
	v_readlane_b32 s82, v3, 7                                  // 000000005918: D2890052 00010F03
	s_lshr_b32 s61, s82, 24                                    // 000000005920: 8F3D9852
	s_and_b32 s82, s82, 0xffffff                               // 000000005924: 8652FF52 00FFFFFF
	s_mul_i32 s82, s82, s71                                    // 00000000592C: 92524752
	s_mul_i32 s61, s60, s61                                    // 000000005930: 923D3D3C
	s_add_u32 s82, s82, s61                                    // 000000005934: 80523D52
	v_mul_lo_u32 v7, v4, s82                                   // 000000005938: D2850007 0000A504
	v_add_u32_e32 v55, v6, v7                                  // 000000005940: 686E0F06
	v_readlane_b32 s82, v3, 8                                  // 000000005944: D2890052 00011103
	s_lshr_b32 s61, s82, 24                                    // 00000000594C: 8F3D9852
	s_and_b32 s82, s82, 0xffffff                               // 000000005950: 8652FF52 00FFFFFF
	s_mul_i32 s82, s82, s71                                    // 000000005958: 92524752
	s_mul_i32 s61, s60, s61                                    // 00000000595C: 923D3D3C
	s_add_u32 s82, s82, s61                                    // 000000005960: 80523D52
	v_mul_lo_u32 v6, v5, s82                                   // 000000005964: D2850006 0000A505
	v_readlane_b32 s82, v3, 9                                  // 00000000596C: D2890052 00011303
	s_lshr_b32 s61, s82, 24                                    // 000000005974: 8F3D9852
	s_and_b32 s82, s82, 0xffffff                               // 000000005978: 8652FF52 00FFFFFF
	s_mul_i32 s82, s82, s71                                    // 000000005980: 92524752
	s_mul_i32 s61, s60, s61                                    // 000000005984: 923D3D3C
	s_add_u32 s82, s82, s61                                    // 000000005988: 80523D52
	v_mul_lo_u32 v7, v4, s82                                   // 00000000598C: D2850007 0000A504
	v_add_u32_e32 v56, v6, v7                                  // 000000005994: 68700F06
	v_readlane_b32 s82, v3, 10                                 // 000000005998: D2890052 00011503
	s_lshr_b32 s61, s82, 24                                    // 0000000059A0: 8F3D9852
	s_and_b32 s82, s82, 0xffffff                               // 0000000059A4: 8652FF52 00FFFFFF
	s_mul_i32 s82, s82, s71                                    // 0000000059AC: 92524752
	s_mul_i32 s61, s60, s61                                    // 0000000059B0: 923D3D3C
	s_add_u32 s82, s82, s61                                    // 0000000059B4: 80523D52
	v_mul_lo_u32 v6, v5, s82                                   // 0000000059B8: D2850006 0000A505
	v_readlane_b32 s82, v3, 11                                 // 0000000059C0: D2890052 00011703
	s_lshr_b32 s61, s82, 24                                    // 0000000059C8: 8F3D9852
	s_and_b32 s82, s82, 0xffffff                               // 0000000059CC: 8652FF52 00FFFFFF
	s_mul_i32 s82, s82, s71                                    // 0000000059D4: 92524752
	s_mul_i32 s61, s60, s61                                    // 0000000059D8: 923D3D3C
	s_add_u32 s82, s82, s61                                    // 0000000059DC: 80523D52
	v_mul_lo_u32 v7, v4, s82                                   // 0000000059E0: D2850007 0000A504
	v_add_u32_e32 v57, v6, v7                                  // 0000000059E8: 68720F06
	v_readlane_b32 s82, v3, 12                                 // 0000000059EC: D2890052 00011903
	s_lshr_b32 s61, s82, 24                                    // 0000000059F4: 8F3D9852
	s_and_b32 s82, s82, 0xffffff                               // 0000000059F8: 8652FF52 00FFFFFF
	s_mul_i32 s82, s82, s71                                    // 000000005A00: 92524752
	s_mul_i32 s61, s60, s61                                    // 000000005A04: 923D3D3C
	s_add_u32 s82, s82, s61                                    // 000000005A08: 80523D52
	v_mul_lo_u32 v6, v5, s82                                   // 000000005A0C: D2850006 0000A505
	v_readlane_b32 s82, v3, 13                                 // 000000005A14: D2890052 00011B03
	s_lshr_b32 s61, s82, 24                                    // 000000005A1C: 8F3D9852
	s_and_b32 s82, s82, 0xffffff                               // 000000005A20: 8652FF52 00FFFFFF
	s_mul_i32 s82, s82, s71                                    // 000000005A28: 92524752
	s_mul_i32 s61, s60, s61                                    // 000000005A2C: 923D3D3C
	s_add_u32 s82, s82, s61                                    // 000000005A30: 80523D52
	v_mul_lo_u32 v7, v4, s82                                   // 000000005A34: D2850007 0000A504
	v_add_u32_e32 v58, v6, v7                                  // 000000005A3C: 68740F06
	v_readlane_b32 s82, v3, 14                                 // 000000005A40: D2890052 00011D03
	s_lshr_b32 s61, s82, 24                                    // 000000005A48: 8F3D9852
	s_and_b32 s82, s82, 0xffffff                               // 000000005A4C: 8652FF52 00FFFFFF
	s_mul_i32 s82, s82, s71                                    // 000000005A54: 92524752
	s_mul_i32 s61, s60, s61                                    // 000000005A58: 923D3D3C
	s_add_u32 s82, s82, s61                                    // 000000005A5C: 80523D52
	v_mul_lo_u32 v6, v5, s82                                   // 000000005A60: D2850006 0000A505
	v_readlane_b32 s82, v3, 15                                 // 000000005A68: D2890052 00011F03
	s_lshr_b32 s61, s82, 24                                    // 000000005A70: 8F3D9852
	s_and_b32 s82, s82, 0xffffff                               // 000000005A74: 8652FF52 00FFFFFF
	s_mul_i32 s82, s82, s71                                    // 000000005A7C: 92524752
	s_mul_i32 s61, s60, s61                                    // 000000005A80: 923D3D3C
	s_add_u32 s82, s82, s61                                    // 000000005A84: 80523D52
	v_mul_lo_u32 v7, v4, s82                                   // 000000005A88: D2850007 0000A504
	v_add_u32_e32 v59, v6, v7                                  // 000000005A90: 68760F06
	v_readlane_b32 s82, v3, 16                                 // 000000005A94: D2890052 00012103
	s_lshr_b32 s61, s82, 24                                    // 000000005A9C: 8F3D9852
	s_and_b32 s82, s82, 0xffffff                               // 000000005AA0: 8652FF52 00FFFFFF
	s_mul_i32 s82, s82, s71                                    // 000000005AA8: 92524752
	s_mul_i32 s61, s60, s61                                    // 000000005AAC: 923D3D3C
	s_add_u32 s82, s82, s61                                    // 000000005AB0: 80523D52
	v_mul_lo_u32 v6, v5, s82                                   // 000000005AB4: D2850006 0000A505
	v_readlane_b32 s82, v3, 17                                 // 000000005ABC: D2890052 00012303
	s_lshr_b32 s61, s82, 24                                    // 000000005AC4: 8F3D9852
	s_and_b32 s82, s82, 0xffffff                               // 000000005AC8: 8652FF52 00FFFFFF
	s_mul_i32 s82, s82, s71                                    // 000000005AD0: 92524752
	s_mul_i32 s61, s60, s61                                    // 000000005AD4: 923D3D3C
	s_add_u32 s82, s82, s61                                    // 000000005AD8: 80523D52
	v_mul_lo_u32 v7, v4, s82                                   // 000000005ADC: D2850007 0000A504
	v_add_u32_e32 v60, v6, v7                                  // 000000005AE4: 68780F06
	v_readlane_b32 s82, v3, 18                                 // 000000005AE8: D2890052 00012503
	s_lshr_b32 s61, s82, 24                                    // 000000005AF0: 8F3D9852
	s_and_b32 s82, s82, 0xffffff                               // 000000005AF4: 8652FF52 00FFFFFF
	s_mul_i32 s82, s82, s71                                    // 000000005AFC: 92524752
	s_mul_i32 s61, s60, s61                                    // 000000005B00: 923D3D3C
	s_add_u32 s82, s82, s61                                    // 000000005B04: 80523D52
	v_mul_lo_u32 v6, v5, s82                                   // 000000005B08: D2850006 0000A505
	v_readlane_b32 s82, v3, 19                                 // 000000005B10: D2890052 00012703
	s_lshr_b32 s61, s82, 24                                    // 000000005B18: 8F3D9852
	s_and_b32 s82, s82, 0xffffff                               // 000000005B1C: 8652FF52 00FFFFFF
	s_mul_i32 s82, s82, s71                                    // 000000005B24: 92524752
	s_mul_i32 s61, s60, s61                                    // 000000005B28: 923D3D3C
	s_add_u32 s82, s82, s61                                    // 000000005B2C: 80523D52
	v_mul_lo_u32 v7, v4, s82                                   // 000000005B30: D2850007 0000A504
	v_add_u32_e32 v61, v6, v7                                  // 000000005B38: 687A0F06
	v_readlane_b32 s82, v3, 20                                 // 000000005B3C: D2890052 00012903
	s_lshr_b32 s61, s82, 24                                    // 000000005B44: 8F3D9852
	s_and_b32 s82, s82, 0xffffff                               // 000000005B48: 8652FF52 00FFFFFF
	s_mul_i32 s82, s82, s71                                    // 000000005B50: 92524752
	s_mul_i32 s61, s60, s61                                    // 000000005B54: 923D3D3C
	s_add_u32 s82, s82, s61                                    // 000000005B58: 80523D52
	v_mul_lo_u32 v6, v5, s82                                   // 000000005B5C: D2850006 0000A505
	v_readlane_b32 s82, v3, 21                                 // 000000005B64: D2890052 00012B03
	s_lshr_b32 s61, s82, 24                                    // 000000005B6C: 8F3D9852
	s_and_b32 s82, s82, 0xffffff                               // 000000005B70: 8652FF52 00FFFFFF
	s_mul_i32 s82, s82, s71                                    // 000000005B78: 92524752
	s_mul_i32 s61, s60, s61                                    // 000000005B7C: 923D3D3C
	s_add_u32 s82, s82, s61                                    // 000000005B80: 80523D52
	v_mul_lo_u32 v7, v4, s82                                   // 000000005B84: D2850007 0000A504
	v_add_u32_e32 v62, v6, v7                                  // 000000005B8C: 687C0F06
	v_readlane_b32 s82, v3, 22                                 // 000000005B90: D2890052 00012D03
	s_lshr_b32 s61, s82, 24                                    // 000000005B98: 8F3D9852
	s_and_b32 s82, s82, 0xffffff                               // 000000005B9C: 8652FF52 00FFFFFF
	s_mul_i32 s82, s82, s71                                    // 000000005BA4: 92524752
	s_mul_i32 s61, s60, s61                                    // 000000005BA8: 923D3D3C
	s_add_u32 s82, s82, s61                                    // 000000005BAC: 80523D52
	v_mul_lo_u32 v6, v5, s82                                   // 000000005BB0: D2850006 0000A505
	v_readlane_b32 s82, v3, 23                                 // 000000005BB8: D2890052 00012F03
	s_lshr_b32 s61, s82, 24                                    // 000000005BC0: 8F3D9852
	s_and_b32 s82, s82, 0xffffff                               // 000000005BC4: 8652FF52 00FFFFFF
	s_mul_i32 s82, s82, s71                                    // 000000005BCC: 92524752
	s_mul_i32 s61, s60, s61                                    // 000000005BD0: 923D3D3C
	s_add_u32 s82, s82, s61                                    // 000000005BD4: 80523D52
	v_mul_lo_u32 v7, v4, s82                                   // 000000005BD8: D2850007 0000A504
	v_add_u32_e32 v63, v6, v7                                  // 000000005BE0: 687E0F06
	v_and_b32_e32 v4, 31, v0                                   // 000000005BE4: 2608009F
	v_lshrrev_b32_e32 v4, 1, v4                                // 000000005BE8: 20080881
	s_cmp_eq_u32 s88, 0                                        // 000000005BEC: BF068058
	s_cselect_b32 s61, 2, 4                                    // 000000005BF0: 853D8482
	v_mul_lo_u32 v4, v4, s61                                   // 000000005BF4: D2850004 00007B04
	v_and_b32_e64 v5, v0, 1                                    // 000000005BFC: D1130005 00010300
	v_add_u32_e32 v4, v4, v5                                   // 000000005C04: 68080B04
	v_lshlrev_b32_e32 v4, 2, v4                                // 000000005C08: 24080882
	v_add_u32_e32 v52, v52, v4                                 // 000000005C0C: 68680934
	v_add_u32_e32 v53, v53, v4                                 // 000000005C10: 686A0935
	v_add_u32_e32 v54, v54, v4                                 // 000000005C14: 686C0936
	v_add_u32_e32 v55, v55, v4                                 // 000000005C18: 686E0937
	v_add_u32_e32 v56, v56, v4                                 // 000000005C1C: 68700938
	v_add_u32_e32 v57, v57, v4                                 // 000000005C20: 68720939
	v_add_u32_e32 v58, v58, v4                                 // 000000005C24: 6874093A
	v_add_u32_e32 v59, v59, v4                                 // 000000005C28: 6876093B
	v_add_u32_e32 v60, v60, v4                                 // 000000005C2C: 6878093C
	v_add_u32_e32 v61, v61, v4                                 // 000000005C30: 687A093D
	v_add_u32_e32 v62, v62, v4                                 // 000000005C34: 687C093E
	v_add_u32_e32 v63, v63, v4                                 // 000000005C38: 687E093F
	s_waitcnt lgkmcnt(0)                                       // 000000005C3C: BF8CC07F
	s_barrier                                                  // 000000005C40: BF8A0000
	ds_read_b32 v68, v21                                       // 000000005C44: D86C0000 44000015
	ds_read_b32 v69, v21 offset:64                             // 000000005C4C: D86C0040 45000015
	ds_read_b32 v70, v21 offset:2176                           // 000000005C54: D86C0880 46000015
	ds_read_b32 v71, v21 offset:2240                           // 000000005C5C: D86C08C0 47000015
	ds_read_b32 v72, v21 offset:4352                           // 000000005C64: D86C1100 48000015
	ds_read_b32 v73, v21 offset:4416                           // 000000005C6C: D86C1140 49000015
	ds_read_b32 v74, v21 offset:6528                           // 000000005C74: D86C1980 4A000015
	ds_read_b32 v75, v21 offset:6592                           // 000000005C7C: D86C19C0 4B000015
	ds_read_b32 v76, v21 offset:8704                           // 000000005C84: D86C2200 4C000015
	ds_read_b32 v77, v21 offset:8768                           // 000000005C8C: D86C2240 4D000015
	ds_read_b32 v78, v21 offset:10880                          // 000000005C94: D86C2A80 4E000015
	ds_read_b32 v79, v21 offset:10944                          // 000000005C9C: D86C2AC0 4F000015
	ds_read_b32 v80, v21 offset:13056                          // 000000005CA4: D86C3300 50000015
	ds_read_b32 v81, v21 offset:13120                          // 000000005CAC: D86C3340 51000015
	ds_read_b32 v82, v21 offset:15232                          // 000000005CB4: D86C3B80 52000015
	ds_read_b32 v83, v21 offset:15296                          // 000000005CBC: D86C3BC0 53000015
	ds_read_b32 v84, v21 offset:17408                          // 000000005CC4: D86C4400 54000015
	ds_read_b32 v85, v21 offset:17472                          // 000000005CCC: D86C4440 55000015
	ds_read_b32 v86, v21 offset:19584                          // 000000005CD4: D86C4C80 56000015
	ds_read_b32 v87, v21 offset:19648                          // 000000005CDC: D86C4CC0 57000015
	ds_read_b32 v88, v21 offset:21760                          // 000000005CE4: D86C5500 58000015
	ds_read_b32 v89, v21 offset:21824                          // 000000005CEC: D86C5540 59000015
	ds_read_b32 v90, v21 offset:23936                          // 000000005CF4: D86C5D80 5A000015
	ds_read_b32 v91, v21 offset:24000                          // 000000005CFC: D86C5DC0 5B000015
	s_waitcnt lgkmcnt(0)                                       // 000000005D04: BF8CC07F
	s_mov_b32 s36, -1                                          // 000000005D08: BEA400C1
	s_mov_b32 s37, -1                                          // 000000005D0C: BEA500C1
	v_mov_b32_e32 v7, 0                                        // 000000005D10: 7E0E0280
	s_or_b32 s9, s9, 0x40000                                   // 000000005D14: 8709FF09 00040000
	s_mov_b64 exec, s[36:37]                                   // 000000005D1C: BEFE0124
	v_mov_b32_e32 v6, v52                                      // 000000005D20: 7E0C0334
	s_mov_b64 s[60:61], 0                                      // 000000005D24: BEBC0180
	v_readlane_b32 s82, v3, 0                                  // 000000005D28: D2890052 00010103
	s_and_b32 s82, s82, 0xffffff                               // 000000005D30: 8652FF52 00FFFFFF
	s_cmp_lt_u32 s82, s66                                      // 000000005D38: BF0A4252
	s_cselect_b32 s20, s36, s60                                // 000000005D3C: 85143C24
	v_readlane_b32 s82, v3, 1                                  // 000000005D40: D2890052 00010303
	s_and_b32 s82, s82, 0xffffff                               // 000000005D48: 8652FF52 00FFFFFF
	s_cmp_lt_u32 s82, s66                                      // 000000005D50: BF0A4252
	s_cselect_b32 s21, s36, s60                                // 000000005D54: 85153C24
	s_mov_b64 exec, s[20:21]                                   // 000000005D58: BEFE0114
	buffer_store_dword v68, v6, s[8:11], 0 offen               // 000000005D5C: E0701000 80024406
	buffer_store_dword v70, v6, s[8:11], 0 offen offset:128    // 000000005D64: E0701080 80024606
	s_mov_b64 exec, s[36:37]                                   // 000000005D6C: BEFE0124
	v_mov_b32_e32 v6, v53                                      // 000000005D70: 7E0C0335
	s_mov_b64 s[60:61], 0                                      // 000000005D74: BEBC0180
	v_readlane_b32 s82, v3, 2                                  // 000000005D78: D2890052 00010503
	s_and_b32 s82, s82, 0xffffff                               // 000000005D80: 8652FF52 00FFFFFF
	s_cmp_lt_u32 s82, s66                                      // 000000005D88: BF0A4252
	s_cselect_b32 s20, s36, s60                                // 000000005D8C: 85143C24
	v_readlane_b32 s82, v3, 3                                  // 000000005D90: D2890052 00010703
	s_and_b32 s82, s82, 0xffffff                               // 000000005D98: 8652FF52 00FFFFFF
	s_cmp_lt_u32 s82, s66                                      // 000000005DA0: BF0A4252
	s_cselect_b32 s21, s36, s60                                // 000000005DA4: 85153C24
	s_mov_b64 exec, s[20:21]                                   // 000000005DA8: BEFE0114
	buffer_store_dword v69, v6, s[8:11], 0 offen               // 000000005DAC: E0701000 80024506
	buffer_store_dword v71, v6, s[8:11], 0 offen offset:128    // 000000005DB4: E0701080 80024706
	s_mov_b64 exec, s[36:37]                                   // 000000005DBC: BEFE0124
	v_mov_b32_e32 v6, v54                                      // 000000005DC0: 7E0C0336
	s_mov_b64 s[60:61], 0                                      // 000000005DC4: BEBC0180
	v_readlane_b32 s82, v3, 4                                  // 000000005DC8: D2890052 00010903
	s_and_b32 s82, s82, 0xffffff                               // 000000005DD0: 8652FF52 00FFFFFF
	s_cmp_lt_u32 s82, s66                                      // 000000005DD8: BF0A4252
	s_cselect_b32 s20, s36, s60                                // 000000005DDC: 85143C24
	v_readlane_b32 s82, v3, 5                                  // 000000005DE0: D2890052 00010B03
	s_and_b32 s82, s82, 0xffffff                               // 000000005DE8: 8652FF52 00FFFFFF
	s_cmp_lt_u32 s82, s66                                      // 000000005DF0: BF0A4252
	s_cselect_b32 s21, s36, s60                                // 000000005DF4: 85153C24
	s_mov_b64 exec, s[20:21]                                   // 000000005DF8: BEFE0114
	buffer_store_dword v72, v6, s[8:11], 0 offen               // 000000005DFC: E0701000 80024806
	buffer_store_dword v74, v6, s[8:11], 0 offen offset:128    // 000000005E04: E0701080 80024A06
	s_mov_b64 exec, s[36:37]                                   // 000000005E0C: BEFE0124
	v_mov_b32_e32 v6, v55                                      // 000000005E10: 7E0C0337
	s_mov_b64 s[60:61], 0                                      // 000000005E14: BEBC0180
	v_readlane_b32 s82, v3, 6                                  // 000000005E18: D2890052 00010D03
	s_and_b32 s82, s82, 0xffffff                               // 000000005E20: 8652FF52 00FFFFFF
	s_cmp_lt_u32 s82, s66                                      // 000000005E28: BF0A4252
	s_cselect_b32 s20, s36, s60                                // 000000005E2C: 85143C24
	v_readlane_b32 s82, v3, 7                                  // 000000005E30: D2890052 00010F03
	s_and_b32 s82, s82, 0xffffff                               // 000000005E38: 8652FF52 00FFFFFF
	s_cmp_lt_u32 s82, s66                                      // 000000005E40: BF0A4252
	s_cselect_b32 s21, s36, s60                                // 000000005E44: 85153C24
	s_mov_b64 exec, s[20:21]                                   // 000000005E48: BEFE0114
	buffer_store_dword v73, v6, s[8:11], 0 offen               // 000000005E4C: E0701000 80024906
	buffer_store_dword v75, v6, s[8:11], 0 offen offset:128    // 000000005E54: E0701080 80024B06
	s_mov_b64 exec, s[36:37]                                   // 000000005E5C: BEFE0124
	v_mov_b32_e32 v6, v56                                      // 000000005E60: 7E0C0338
	s_mov_b64 s[60:61], 0                                      // 000000005E64: BEBC0180
	v_readlane_b32 s82, v3, 8                                  // 000000005E68: D2890052 00011103
	s_and_b32 s82, s82, 0xffffff                               // 000000005E70: 8652FF52 00FFFFFF
	s_cmp_lt_u32 s82, s66                                      // 000000005E78: BF0A4252
	s_cselect_b32 s20, s36, s60                                // 000000005E7C: 85143C24
	v_readlane_b32 s82, v3, 9                                  // 000000005E80: D2890052 00011303
	s_and_b32 s82, s82, 0xffffff                               // 000000005E88: 8652FF52 00FFFFFF
	s_cmp_lt_u32 s82, s66                                      // 000000005E90: BF0A4252
	s_cselect_b32 s21, s36, s60                                // 000000005E94: 85153C24
	s_mov_b64 exec, s[20:21]                                   // 000000005E98: BEFE0114
	buffer_store_dword v76, v6, s[8:11], 0 offen               // 000000005E9C: E0701000 80024C06
	buffer_store_dword v78, v6, s[8:11], 0 offen offset:128    // 000000005EA4: E0701080 80024E06
	s_mov_b64 exec, s[36:37]                                   // 000000005EAC: BEFE0124
	v_mov_b32_e32 v6, v57                                      // 000000005EB0: 7E0C0339
	s_mov_b64 s[60:61], 0                                      // 000000005EB4: BEBC0180
	v_readlane_b32 s82, v3, 10                                 // 000000005EB8: D2890052 00011503
	s_and_b32 s82, s82, 0xffffff                               // 000000005EC0: 8652FF52 00FFFFFF
	s_cmp_lt_u32 s82, s66                                      // 000000005EC8: BF0A4252
	s_cselect_b32 s20, s36, s60                                // 000000005ECC: 85143C24
	v_readlane_b32 s82, v3, 11                                 // 000000005ED0: D2890052 00011703
	s_and_b32 s82, s82, 0xffffff                               // 000000005ED8: 8652FF52 00FFFFFF
	s_cmp_lt_u32 s82, s66                                      // 000000005EE0: BF0A4252
	s_cselect_b32 s21, s36, s60                                // 000000005EE4: 85153C24
	s_mov_b64 exec, s[20:21]                                   // 000000005EE8: BEFE0114
	buffer_store_dword v77, v6, s[8:11], 0 offen               // 000000005EEC: E0701000 80024D06
	buffer_store_dword v79, v6, s[8:11], 0 offen offset:128    // 000000005EF4: E0701080 80024F06
	s_mov_b64 exec, s[36:37]                                   // 000000005EFC: BEFE0124
	v_mov_b32_e32 v6, v58                                      // 000000005F00: 7E0C033A
	s_mov_b64 s[60:61], 0                                      // 000000005F04: BEBC0180
	v_readlane_b32 s82, v3, 12                                 // 000000005F08: D2890052 00011903
	s_and_b32 s82, s82, 0xffffff                               // 000000005F10: 8652FF52 00FFFFFF
	s_cmp_lt_u32 s82, s66                                      // 000000005F18: BF0A4252
	s_cselect_b32 s20, s36, s60                                // 000000005F1C: 85143C24
	v_readlane_b32 s82, v3, 13                                 // 000000005F20: D2890052 00011B03
	s_and_b32 s82, s82, 0xffffff                               // 000000005F28: 8652FF52 00FFFFFF
	s_cmp_lt_u32 s82, s66                                      // 000000005F30: BF0A4252
	s_cselect_b32 s21, s36, s60                                // 000000005F34: 85153C24
	s_mov_b64 exec, s[20:21]                                   // 000000005F38: BEFE0114
	buffer_store_dword v80, v6, s[8:11], 0 offen               // 000000005F3C: E0701000 80025006
	buffer_store_dword v82, v6, s[8:11], 0 offen offset:128    // 000000005F44: E0701080 80025206
	s_mov_b64 exec, s[36:37]                                   // 000000005F4C: BEFE0124
	v_mov_b32_e32 v6, v59                                      // 000000005F50: 7E0C033B
	s_mov_b64 s[60:61], 0                                      // 000000005F54: BEBC0180
	v_readlane_b32 s82, v3, 14                                 // 000000005F58: D2890052 00011D03
	s_and_b32 s82, s82, 0xffffff                               // 000000005F60: 8652FF52 00FFFFFF
	s_cmp_lt_u32 s82, s66                                      // 000000005F68: BF0A4252
	s_cselect_b32 s20, s36, s60                                // 000000005F6C: 85143C24
	v_readlane_b32 s82, v3, 15                                 // 000000005F70: D2890052 00011F03
	s_and_b32 s82, s82, 0xffffff                               // 000000005F78: 8652FF52 00FFFFFF
	s_cmp_lt_u32 s82, s66                                      // 000000005F80: BF0A4252
	s_cselect_b32 s21, s36, s60                                // 000000005F84: 85153C24
	s_mov_b64 exec, s[20:21]                                   // 000000005F88: BEFE0114
	buffer_store_dword v81, v6, s[8:11], 0 offen               // 000000005F8C: E0701000 80025106
	buffer_store_dword v83, v6, s[8:11], 0 offen offset:128    // 000000005F94: E0701080 80025306
	s_mov_b64 exec, s[36:37]                                   // 000000005F9C: BEFE0124
	v_mov_b32_e32 v6, v60                                      // 000000005FA0: 7E0C033C
	s_mov_b64 s[60:61], 0                                      // 000000005FA4: BEBC0180
	v_readlane_b32 s82, v3, 16                                 // 000000005FA8: D2890052 00012103
	s_and_b32 s82, s82, 0xffffff                               // 000000005FB0: 8652FF52 00FFFFFF
	s_cmp_lt_u32 s82, s66                                      // 000000005FB8: BF0A4252
	s_cselect_b32 s20, s36, s60                                // 000000005FBC: 85143C24
	v_readlane_b32 s82, v3, 17                                 // 000000005FC0: D2890052 00012303
	s_and_b32 s82, s82, 0xffffff                               // 000000005FC8: 8652FF52 00FFFFFF
	s_cmp_lt_u32 s82, s66                                      // 000000005FD0: BF0A4252
	s_cselect_b32 s21, s36, s60                                // 000000005FD4: 85153C24
	s_mov_b64 exec, s[20:21]                                   // 000000005FD8: BEFE0114
	buffer_store_dword v84, v6, s[8:11], 0 offen               // 000000005FDC: E0701000 80025406
	buffer_store_dword v86, v6, s[8:11], 0 offen offset:128    // 000000005FE4: E0701080 80025606
	s_mov_b64 exec, s[36:37]                                   // 000000005FEC: BEFE0124
	v_mov_b32_e32 v6, v61                                      // 000000005FF0: 7E0C033D
	s_mov_b64 s[60:61], 0                                      // 000000005FF4: BEBC0180
	v_readlane_b32 s82, v3, 18                                 // 000000005FF8: D2890052 00012503
	s_and_b32 s82, s82, 0xffffff                               // 000000006000: 8652FF52 00FFFFFF
	s_cmp_lt_u32 s82, s66                                      // 000000006008: BF0A4252
	s_cselect_b32 s20, s36, s60                                // 00000000600C: 85143C24
	v_readlane_b32 s82, v3, 19                                 // 000000006010: D2890052 00012703
	s_and_b32 s82, s82, 0xffffff                               // 000000006018: 8652FF52 00FFFFFF
	s_cmp_lt_u32 s82, s66                                      // 000000006020: BF0A4252
	s_cselect_b32 s21, s36, s60                                // 000000006024: 85153C24
	s_mov_b64 exec, s[20:21]                                   // 000000006028: BEFE0114
	buffer_store_dword v85, v6, s[8:11], 0 offen               // 00000000602C: E0701000 80025506
	buffer_store_dword v87, v6, s[8:11], 0 offen offset:128    // 000000006034: E0701080 80025706
	s_mov_b64 exec, s[36:37]                                   // 00000000603C: BEFE0124
	v_mov_b32_e32 v6, v62                                      // 000000006040: 7E0C033E
	s_mov_b64 s[60:61], 0                                      // 000000006044: BEBC0180
	v_readlane_b32 s82, v3, 20                                 // 000000006048: D2890052 00012903
	s_and_b32 s82, s82, 0xffffff                               // 000000006050: 8652FF52 00FFFFFF
	s_cmp_lt_u32 s82, s66                                      // 000000006058: BF0A4252
	s_cselect_b32 s20, s36, s60                                // 00000000605C: 85143C24
	v_readlane_b32 s82, v3, 21                                 // 000000006060: D2890052 00012B03
	s_and_b32 s82, s82, 0xffffff                               // 000000006068: 8652FF52 00FFFFFF
	s_cmp_lt_u32 s82, s66                                      // 000000006070: BF0A4252
	s_cselect_b32 s21, s36, s60                                // 000000006074: 85153C24
	s_mov_b64 exec, s[20:21]                                   // 000000006078: BEFE0114
	buffer_store_dword v88, v6, s[8:11], 0 offen               // 00000000607C: E0701000 80025806
	buffer_store_dword v90, v6, s[8:11], 0 offen offset:128    // 000000006084: E0701080 80025A06
	s_mov_b64 exec, s[36:37]                                   // 00000000608C: BEFE0124
	v_mov_b32_e32 v6, v63                                      // 000000006090: 7E0C033F
	s_mov_b64 s[60:61], 0                                      // 000000006094: BEBC0180
	v_readlane_b32 s82, v3, 22                                 // 000000006098: D2890052 00012D03
	s_and_b32 s82, s82, 0xffffff                               // 0000000060A0: 8652FF52 00FFFFFF
	s_cmp_lt_u32 s82, s66                                      // 0000000060A8: BF0A4252
	s_cselect_b32 s20, s36, s60                                // 0000000060AC: 85143C24
	v_readlane_b32 s82, v3, 23                                 // 0000000060B0: D2890052 00012F03
	s_and_b32 s82, s82, 0xffffff                               // 0000000060B8: 8652FF52 00FFFFFF
	s_cmp_lt_u32 s82, s66                                      // 0000000060C0: BF0A4252
	s_cselect_b32 s21, s36, s60                                // 0000000060C4: 85153C24
	s_mov_b64 exec, s[20:21]                                   // 0000000060C8: BEFE0114
	buffer_store_dword v89, v6, s[8:11], 0 offen               // 0000000060CC: E0701000 80025906
	buffer_store_dword v91, v6, s[8:11], 0 offen offset:128    // 0000000060D4: E0701080 80025B06
	s_mov_b64 exec, s[36:37]                                   // 0000000060DC: BEFE0124
	s_branch label_2486                                        // 0000000060E0: BF8216CA

00000000000060e4 <label_0DB9>:
	ds_write_b64 v20, v[68:69]                                 // 0000000060E4: D89A0000 00004414
	ds_write_b64 v20, v[72:73] offset:4352                     // 0000000060EC: D89A1100 00004814
	ds_write_b64 v20, v[76:77] offset:8704                     // 0000000060F4: D89A2200 00004C14
	ds_write_b64 v20, v[80:81] offset:13056                    // 0000000060FC: D89A3300 00005014
	ds_write_b64 v20, v[84:85] offset:17408                    // 000000006104: D89A4400 00005414
	ds_write_b64 v20, v[88:89] offset:21760                    // 00000000610C: D89A5500 00005814
	ds_write_b64 v20, v[92:93] offset:2176                     // 000000006114: D89A0880 00005C14
	ds_write_b64 v20, v[96:97] offset:6528                     // 00000000611C: D89A1980 00006014
	ds_write_b64 v20, v[100:101] offset:10880                  // 000000006124: D89A2A80 00006414
	ds_write_b64 v20, v[104:105] offset:15232                  // 00000000612C: D89A3B80 00006814
	ds_write_b64 v20, v[108:109] offset:19584                  // 000000006134: D89A4C80 00006C14
	ds_write_b64 v20, v[112:113] offset:23936                  // 00000000613C: D89A5D80 00007014
	v_lshrrev_b32_e32 v4, 5, v0                                // 000000006144: 20080085
	v_xor_b32_e32 v5, 1, v4                                    // 000000006148: 2A0A0881
	s_mul_i32 s60, s65, 2                                      // 00000000614C: 923C8241
	s_cmp_eq_u32 s88, 0                                        // 000000006150: BF068058
	s_cselect_b32 s61, 1, 4                                    // 000000006154: 853D8481
	s_mul_i32 s60, s61, s60                                    // 000000006158: 923C3C3D
	v_readlane_b32 s82, v3, 0                                  // 00000000615C: D2890052 00010103
	s_lshr_b32 s61, s82, 24                                    // 000000006164: 8F3D9852
	s_and_b32 s82, s82, 0xffffff                               // 000000006168: 8652FF52 00FFFFFF
	s_mul_i32 s82, s82, s71                                    // 000000006170: 92524752
	s_mul_i32 s61, s60, s61                                    // 000000006174: 923D3D3C
	s_add_u32 s82, s82, s61                                    // 000000006178: 80523D52
	v_mul_lo_u32 v6, v5, s82                                   // 00000000617C: D2850006 0000A505
	v_readlane_b32 s82, v3, 1                                  // 000000006184: D2890052 00010303
	s_lshr_b32 s61, s82, 24                                    // 00000000618C: 8F3D9852
	s_and_b32 s82, s82, 0xffffff                               // 000000006190: 8652FF52 00FFFFFF
	s_mul_i32 s82, s82, s71                                    // 000000006198: 92524752
	s_mul_i32 s61, s60, s61                                    // 00000000619C: 923D3D3C
	s_add_u32 s82, s82, s61                                    // 0000000061A0: 80523D52
	v_mul_lo_u32 v7, v4, s82                                   // 0000000061A4: D2850007 0000A504
	v_add_u32_e32 v52, v6, v7                                  // 0000000061AC: 68680F06
	v_readlane_b32 s82, v3, 2                                  // 0000000061B0: D2890052 00010503
	s_lshr_b32 s61, s82, 24                                    // 0000000061B8: 8F3D9852
	s_and_b32 s82, s82, 0xffffff                               // 0000000061BC: 8652FF52 00FFFFFF
	s_mul_i32 s82, s82, s71                                    // 0000000061C4: 92524752
	s_mul_i32 s61, s60, s61                                    // 0000000061C8: 923D3D3C
	s_add_u32 s82, s82, s61                                    // 0000000061CC: 80523D52
	v_mul_lo_u32 v6, v5, s82                                   // 0000000061D0: D2850006 0000A505
	v_readlane_b32 s82, v3, 3                                  // 0000000061D8: D2890052 00010703
	s_lshr_b32 s61, s82, 24                                    // 0000000061E0: 8F3D9852
	s_and_b32 s82, s82, 0xffffff                               // 0000000061E4: 8652FF52 00FFFFFF
	s_mul_i32 s82, s82, s71                                    // 0000000061EC: 92524752
	s_mul_i32 s61, s60, s61                                    // 0000000061F0: 923D3D3C
	s_add_u32 s82, s82, s61                                    // 0000000061F4: 80523D52
	v_mul_lo_u32 v7, v4, s82                                   // 0000000061F8: D2850007 0000A504
	v_add_u32_e32 v53, v6, v7                                  // 000000006200: 686A0F06
	v_readlane_b32 s82, v3, 4                                  // 000000006204: D2890052 00010903
	s_lshr_b32 s61, s82, 24                                    // 00000000620C: 8F3D9852
	s_and_b32 s82, s82, 0xffffff                               // 000000006210: 8652FF52 00FFFFFF
	s_mul_i32 s82, s82, s71                                    // 000000006218: 92524752
	s_mul_i32 s61, s60, s61                                    // 00000000621C: 923D3D3C
	s_add_u32 s82, s82, s61                                    // 000000006220: 80523D52
	v_mul_lo_u32 v6, v5, s82                                   // 000000006224: D2850006 0000A505
	v_readlane_b32 s82, v3, 5                                  // 00000000622C: D2890052 00010B03
	s_lshr_b32 s61, s82, 24                                    // 000000006234: 8F3D9852
	s_and_b32 s82, s82, 0xffffff                               // 000000006238: 8652FF52 00FFFFFF
	s_mul_i32 s82, s82, s71                                    // 000000006240: 92524752
	s_mul_i32 s61, s60, s61                                    // 000000006244: 923D3D3C
	s_add_u32 s82, s82, s61                                    // 000000006248: 80523D52
	v_mul_lo_u32 v7, v4, s82                                   // 00000000624C: D2850007 0000A504
	v_add_u32_e32 v54, v6, v7                                  // 000000006254: 686C0F06
	v_readlane_b32 s82, v3, 6                                  // 000000006258: D2890052 00010D03
	s_lshr_b32 s61, s82, 24                                    // 000000006260: 8F3D9852
	s_and_b32 s82, s82, 0xffffff                               // 000000006264: 8652FF52 00FFFFFF
	s_mul_i32 s82, s82, s71                                    // 00000000626C: 92524752
	s_mul_i32 s61, s60, s61                                    // 000000006270: 923D3D3C
	s_add_u32 s82, s82, s61                                    // 000000006274: 80523D52
	v_mul_lo_u32 v6, v5, s82                                   // 000000006278: D2850006 0000A505
	v_readlane_b32 s82, v3, 7                                  // 000000006280: D2890052 00010F03
	s_lshr_b32 s61, s82, 24                                    // 000000006288: 8F3D9852
	s_and_b32 s82, s82, 0xffffff                               // 00000000628C: 8652FF52 00FFFFFF
	s_mul_i32 s82, s82, s71                                    // 000000006294: 92524752
	s_mul_i32 s61, s60, s61                                    // 000000006298: 923D3D3C
	s_add_u32 s82, s82, s61                                    // 00000000629C: 80523D52
	v_mul_lo_u32 v7, v4, s82                                   // 0000000062A0: D2850007 0000A504
	v_add_u32_e32 v55, v6, v7                                  // 0000000062A8: 686E0F06
	v_readlane_b32 s82, v3, 8                                  // 0000000062AC: D2890052 00011103
	s_lshr_b32 s61, s82, 24                                    // 0000000062B4: 8F3D9852
	s_and_b32 s82, s82, 0xffffff                               // 0000000062B8: 8652FF52 00FFFFFF
	s_mul_i32 s82, s82, s71                                    // 0000000062C0: 92524752
	s_mul_i32 s61, s60, s61                                    // 0000000062C4: 923D3D3C
	s_add_u32 s82, s82, s61                                    // 0000000062C8: 80523D52
	v_mul_lo_u32 v6, v5, s82                                   // 0000000062CC: D2850006 0000A505
	v_readlane_b32 s82, v3, 9                                  // 0000000062D4: D2890052 00011303
	s_lshr_b32 s61, s82, 24                                    // 0000000062DC: 8F3D9852
	s_and_b32 s82, s82, 0xffffff                               // 0000000062E0: 8652FF52 00FFFFFF
	s_mul_i32 s82, s82, s71                                    // 0000000062E8: 92524752
	s_mul_i32 s61, s60, s61                                    // 0000000062EC: 923D3D3C
	s_add_u32 s82, s82, s61                                    // 0000000062F0: 80523D52
	v_mul_lo_u32 v7, v4, s82                                   // 0000000062F4: D2850007 0000A504
	v_add_u32_e32 v56, v6, v7                                  // 0000000062FC: 68700F06
	v_readlane_b32 s82, v3, 10                                 // 000000006300: D2890052 00011503
	s_lshr_b32 s61, s82, 24                                    // 000000006308: 8F3D9852
	s_and_b32 s82, s82, 0xffffff                               // 00000000630C: 8652FF52 00FFFFFF
	s_mul_i32 s82, s82, s71                                    // 000000006314: 92524752
	s_mul_i32 s61, s60, s61                                    // 000000006318: 923D3D3C
	s_add_u32 s82, s82, s61                                    // 00000000631C: 80523D52
	v_mul_lo_u32 v6, v5, s82                                   // 000000006320: D2850006 0000A505
	v_readlane_b32 s82, v3, 11                                 // 000000006328: D2890052 00011703
	s_lshr_b32 s61, s82, 24                                    // 000000006330: 8F3D9852
	s_and_b32 s82, s82, 0xffffff                               // 000000006334: 8652FF52 00FFFFFF
	s_mul_i32 s82, s82, s71                                    // 00000000633C: 92524752
	s_mul_i32 s61, s60, s61                                    // 000000006340: 923D3D3C
	s_add_u32 s82, s82, s61                                    // 000000006344: 80523D52
	v_mul_lo_u32 v7, v4, s82                                   // 000000006348: D2850007 0000A504
	v_add_u32_e32 v57, v6, v7                                  // 000000006350: 68720F06
	v_readlane_b32 s82, v3, 12                                 // 000000006354: D2890052 00011903
	s_lshr_b32 s61, s82, 24                                    // 00000000635C: 8F3D9852
	s_and_b32 s82, s82, 0xffffff                               // 000000006360: 8652FF52 00FFFFFF
	s_mul_i32 s82, s82, s71                                    // 000000006368: 92524752
	s_mul_i32 s61, s60, s61                                    // 00000000636C: 923D3D3C
	s_add_u32 s82, s82, s61                                    // 000000006370: 80523D52
	v_mul_lo_u32 v6, v5, s82                                   // 000000006374: D2850006 0000A505
	v_readlane_b32 s82, v3, 13                                 // 00000000637C: D2890052 00011B03
	s_lshr_b32 s61, s82, 24                                    // 000000006384: 8F3D9852
	s_and_b32 s82, s82, 0xffffff                               // 000000006388: 8652FF52 00FFFFFF
	s_mul_i32 s82, s82, s71                                    // 000000006390: 92524752
	s_mul_i32 s61, s60, s61                                    // 000000006394: 923D3D3C
	s_add_u32 s82, s82, s61                                    // 000000006398: 80523D52
	v_mul_lo_u32 v7, v4, s82                                   // 00000000639C: D2850007 0000A504
	v_add_u32_e32 v58, v6, v7                                  // 0000000063A4: 68740F06
	v_readlane_b32 s82, v3, 14                                 // 0000000063A8: D2890052 00011D03
	s_lshr_b32 s61, s82, 24                                    // 0000000063B0: 8F3D9852
	s_and_b32 s82, s82, 0xffffff                               // 0000000063B4: 8652FF52 00FFFFFF
	s_mul_i32 s82, s82, s71                                    // 0000000063BC: 92524752
	s_mul_i32 s61, s60, s61                                    // 0000000063C0: 923D3D3C
	s_add_u32 s82, s82, s61                                    // 0000000063C4: 80523D52
	v_mul_lo_u32 v6, v5, s82                                   // 0000000063C8: D2850006 0000A505
	v_readlane_b32 s82, v3, 15                                 // 0000000063D0: D2890052 00011F03
	s_lshr_b32 s61, s82, 24                                    // 0000000063D8: 8F3D9852
	s_and_b32 s82, s82, 0xffffff                               // 0000000063DC: 8652FF52 00FFFFFF
	s_mul_i32 s82, s82, s71                                    // 0000000063E4: 92524752
	s_mul_i32 s61, s60, s61                                    // 0000000063E8: 923D3D3C
	s_add_u32 s82, s82, s61                                    // 0000000063EC: 80523D52
	v_mul_lo_u32 v7, v4, s82                                   // 0000000063F0: D2850007 0000A504
	v_add_u32_e32 v59, v6, v7                                  // 0000000063F8: 68760F06
	v_readlane_b32 s82, v3, 16                                 // 0000000063FC: D2890052 00012103
	s_lshr_b32 s61, s82, 24                                    // 000000006404: 8F3D9852
	s_and_b32 s82, s82, 0xffffff                               // 000000006408: 8652FF52 00FFFFFF
	s_mul_i32 s82, s82, s71                                    // 000000006410: 92524752
	s_mul_i32 s61, s60, s61                                    // 000000006414: 923D3D3C
	s_add_u32 s82, s82, s61                                    // 000000006418: 80523D52
	v_mul_lo_u32 v6, v5, s82                                   // 00000000641C: D2850006 0000A505
	v_readlane_b32 s82, v3, 17                                 // 000000006424: D2890052 00012303
	s_lshr_b32 s61, s82, 24                                    // 00000000642C: 8F3D9852
	s_and_b32 s82, s82, 0xffffff                               // 000000006430: 8652FF52 00FFFFFF
	s_mul_i32 s82, s82, s71                                    // 000000006438: 92524752
	s_mul_i32 s61, s60, s61                                    // 00000000643C: 923D3D3C
	s_add_u32 s82, s82, s61                                    // 000000006440: 80523D52
	v_mul_lo_u32 v7, v4, s82                                   // 000000006444: D2850007 0000A504
	v_add_u32_e32 v60, v6, v7                                  // 00000000644C: 68780F06
	v_readlane_b32 s82, v3, 18                                 // 000000006450: D2890052 00012503
	s_lshr_b32 s61, s82, 24                                    // 000000006458: 8F3D9852
	s_and_b32 s82, s82, 0xffffff                               // 00000000645C: 8652FF52 00FFFFFF
	s_mul_i32 s82, s82, s71                                    // 000000006464: 92524752
	s_mul_i32 s61, s60, s61                                    // 000000006468: 923D3D3C
	s_add_u32 s82, s82, s61                                    // 00000000646C: 80523D52
	v_mul_lo_u32 v6, v5, s82                                   // 000000006470: D2850006 0000A505
	v_readlane_b32 s82, v3, 19                                 // 000000006478: D2890052 00012703
	s_lshr_b32 s61, s82, 24                                    // 000000006480: 8F3D9852
	s_and_b32 s82, s82, 0xffffff                               // 000000006484: 8652FF52 00FFFFFF
	s_mul_i32 s82, s82, s71                                    // 00000000648C: 92524752
	s_mul_i32 s61, s60, s61                                    // 000000006490: 923D3D3C
	s_add_u32 s82, s82, s61                                    // 000000006494: 80523D52
	v_mul_lo_u32 v7, v4, s82                                   // 000000006498: D2850007 0000A504
	v_add_u32_e32 v61, v6, v7                                  // 0000000064A0: 687A0F06
	v_readlane_b32 s82, v3, 20                                 // 0000000064A4: D2890052 00012903
	s_lshr_b32 s61, s82, 24                                    // 0000000064AC: 8F3D9852
	s_and_b32 s82, s82, 0xffffff                               // 0000000064B0: 8652FF52 00FFFFFF
	s_mul_i32 s82, s82, s71                                    // 0000000064B8: 92524752
	s_mul_i32 s61, s60, s61                                    // 0000000064BC: 923D3D3C
	s_add_u32 s82, s82, s61                                    // 0000000064C0: 80523D52
	v_mul_lo_u32 v6, v5, s82                                   // 0000000064C4: D2850006 0000A505
	v_readlane_b32 s82, v3, 21                                 // 0000000064CC: D2890052 00012B03
	s_lshr_b32 s61, s82, 24                                    // 0000000064D4: 8F3D9852
	s_and_b32 s82, s82, 0xffffff                               // 0000000064D8: 8652FF52 00FFFFFF
	s_mul_i32 s82, s82, s71                                    // 0000000064E0: 92524752
	s_mul_i32 s61, s60, s61                                    // 0000000064E4: 923D3D3C
	s_add_u32 s82, s82, s61                                    // 0000000064E8: 80523D52
	v_mul_lo_u32 v7, v4, s82                                   // 0000000064EC: D2850007 0000A504
	v_add_u32_e32 v62, v6, v7                                  // 0000000064F4: 687C0F06
	v_readlane_b32 s82, v3, 22                                 // 0000000064F8: D2890052 00012D03
	s_lshr_b32 s61, s82, 24                                    // 000000006500: 8F3D9852
	s_and_b32 s82, s82, 0xffffff                               // 000000006504: 8652FF52 00FFFFFF
	s_mul_i32 s82, s82, s71                                    // 00000000650C: 92524752
	s_mul_i32 s61, s60, s61                                    // 000000006510: 923D3D3C
	s_add_u32 s82, s82, s61                                    // 000000006514: 80523D52
	v_mul_lo_u32 v6, v5, s82                                   // 000000006518: D2850006 0000A505
	v_readlane_b32 s82, v3, 23                                 // 000000006520: D2890052 00012F03
	s_lshr_b32 s61, s82, 24                                    // 000000006528: 8F3D9852
	s_and_b32 s82, s82, 0xffffff                               // 00000000652C: 8652FF52 00FFFFFF
	s_mul_i32 s82, s82, s71                                    // 000000006534: 92524752
	s_mul_i32 s61, s60, s61                                    // 000000006538: 923D3D3C
	s_add_u32 s82, s82, s61                                    // 00000000653C: 80523D52
	v_mul_lo_u32 v7, v4, s82                                   // 000000006540: D2850007 0000A504
	v_add_u32_e32 v63, v6, v7                                  // 000000006548: 687E0F06
	v_and_b32_e32 v4, 31, v0                                   // 00000000654C: 2608009F
	v_lshrrev_b32_e32 v4, 1, v4                                // 000000006550: 20080881
	s_cmp_eq_u32 s88, 0                                        // 000000006554: BF068058
	s_cselect_b32 s61, 2, 4                                    // 000000006558: 853D8482
	v_mul_lo_u32 v4, v4, s61                                   // 00000000655C: D2850004 00007B04
	v_and_b32_e64 v5, v0, 1                                    // 000000006564: D1130005 00010300
	v_add_u32_e32 v4, v4, v5                                   // 00000000656C: 68080B04
	v_lshlrev_b32_e32 v4, 2, v4                                // 000000006570: 24080882
	v_add_u32_e32 v52, v52, v4                                 // 000000006574: 68680934
	v_add_u32_e32 v53, v53, v4                                 // 000000006578: 686A0935
	v_add_u32_e32 v54, v54, v4                                 // 00000000657C: 686C0936
	v_add_u32_e32 v55, v55, v4                                 // 000000006580: 686E0937
	v_add_u32_e32 v56, v56, v4                                 // 000000006584: 68700938
	v_add_u32_e32 v57, v57, v4                                 // 000000006588: 68720939
	v_add_u32_e32 v58, v58, v4                                 // 00000000658C: 6874093A
	v_add_u32_e32 v59, v59, v4                                 // 000000006590: 6876093B
	v_add_u32_e32 v60, v60, v4                                 // 000000006594: 6878093C
	v_add_u32_e32 v61, v61, v4                                 // 000000006598: 687A093D
	v_add_u32_e32 v62, v62, v4                                 // 00000000659C: 687C093E
	v_add_u32_e32 v63, v63, v4                                 // 0000000065A0: 687E093F
	s_waitcnt lgkmcnt(0)                                       // 0000000065A4: BF8CC07F
	s_barrier                                                  // 0000000065A8: BF8A0000
	ds_read_b32 v68, v21                                       // 0000000065AC: D86C0000 44000015
	ds_read_b32 v69, v21 offset:64                             // 0000000065B4: D86C0040 45000015
	ds_read_b32 v72, v21 offset:2176                           // 0000000065BC: D86C0880 48000015
	ds_read_b32 v73, v21 offset:2240                           // 0000000065C4: D86C08C0 49000015
	ds_read_b32 v76, v21 offset:4352                           // 0000000065CC: D86C1100 4C000015
	ds_read_b32 v77, v21 offset:4416                           // 0000000065D4: D86C1140 4D000015
	ds_read_b32 v80, v21 offset:6528                           // 0000000065DC: D86C1980 50000015
	ds_read_b32 v81, v21 offset:6592                           // 0000000065E4: D86C19C0 51000015
	ds_read_b32 v84, v21 offset:8704                           // 0000000065EC: D86C2200 54000015
	ds_read_b32 v85, v21 offset:8768                           // 0000000065F4: D86C2240 55000015
	ds_read_b32 v88, v21 offset:10880                          // 0000000065FC: D86C2A80 58000015
	ds_read_b32 v89, v21 offset:10944                          // 000000006604: D86C2AC0 59000015
	ds_read_b32 v92, v21 offset:13056                          // 00000000660C: D86C3300 5C000015
	ds_read_b32 v93, v21 offset:13120                          // 000000006614: D86C3340 5D000015
	ds_read_b32 v96, v21 offset:15232                          // 00000000661C: D86C3B80 60000015
	ds_read_b32 v97, v21 offset:15296                          // 000000006624: D86C3BC0 61000015
	ds_read_b32 v100, v21 offset:17408                         // 00000000662C: D86C4400 64000015
	ds_read_b32 v101, v21 offset:17472                         // 000000006634: D86C4440 65000015
	ds_read_b32 v104, v21 offset:19584                         // 00000000663C: D86C4C80 68000015
	ds_read_b32 v105, v21 offset:19648                         // 000000006644: D86C4CC0 69000015
	ds_read_b32 v108, v21 offset:21760                         // 00000000664C: D86C5500 6C000015
	ds_read_b32 v109, v21 offset:21824                         // 000000006654: D86C5540 6D000015
	ds_read_b32 v112, v21 offset:23936                         // 00000000665C: D86C5D80 70000015
	ds_read_b32 v113, v21 offset:24000                         // 000000006664: D86C5DC0 71000015
	s_waitcnt lgkmcnt(0)                                       // 00000000666C: BF8CC07F
	s_mov_b32 s36, -1                                          // 000000006670: BEA400C1
	s_mov_b32 s37, -1                                          // 000000006674: BEA500C1
	v_mov_b32_e32 v7, 0                                        // 000000006678: 7E0E0280
	s_mov_b64 exec, s[36:37]                                   // 00000000667C: BEFE0124
	v_mov_b32_e32 v6, v52                                      // 000000006680: 7E0C0334
	s_mov_b64 s[60:61], 0                                      // 000000006684: BEBC0180
	v_readlane_b32 s82, v3, 0                                  // 000000006688: D2890052 00010103
	s_and_b32 s82, s82, 0xffffff                               // 000000006690: 8652FF52 00FFFFFF
	s_cmp_lt_u32 s82, s66                                      // 000000006698: BF0A4252
	s_cselect_b32 s20, s36, s60                                // 00000000669C: 85143C24
	v_readlane_b32 s82, v3, 1                                  // 0000000066A0: D2890052 00010303
	s_and_b32 s82, s82, 0xffffff                               // 0000000066A8: 8652FF52 00FFFFFF
	s_cmp_lt_u32 s82, s66                                      // 0000000066B0: BF0A4252
	s_cselect_b32 s21, s36, s60                                // 0000000066B4: 85153C24
	s_mov_b64 exec, s[20:21]                                   // 0000000066B8: BEFE0114
	global_atomic_add_f32 v6, v68, s[8:9]                      // 0000000066BC: DD348000 00084406
	global_atomic_add_f32 v6, v72, s[8:9] offset:256           // 0000000066C4: DD348100 00084806
	s_mov_b64 exec, s[36:37]                                   // 0000000066CC: BEFE0124
	v_mov_b32_e32 v6, v53                                      // 0000000066D0: 7E0C0335
	s_mov_b64 s[60:61], 0                                      // 0000000066D4: BEBC0180
	v_readlane_b32 s82, v3, 2                                  // 0000000066D8: D2890052 00010503
	s_and_b32 s82, s82, 0xffffff                               // 0000000066E0: 8652FF52 00FFFFFF
	s_cmp_lt_u32 s82, s66                                      // 0000000066E8: BF0A4252
	s_cselect_b32 s20, s36, s60                                // 0000000066EC: 85143C24
	v_readlane_b32 s82, v3, 3                                  // 0000000066F0: D2890052 00010703
	s_and_b32 s82, s82, 0xffffff                               // 0000000066F8: 8652FF52 00FFFFFF
	s_cmp_lt_u32 s82, s66                                      // 000000006700: BF0A4252
	s_cselect_b32 s21, s36, s60                                // 000000006704: 85153C24
	s_mov_b64 exec, s[20:21]                                   // 000000006708: BEFE0114
	global_atomic_add_f32 v6, v69, s[8:9]                      // 00000000670C: DD348000 00084506
	global_atomic_add_f32 v6, v73, s[8:9] offset:256           // 000000006714: DD348100 00084906
	s_mov_b64 exec, s[36:37]                                   // 00000000671C: BEFE0124
	v_mov_b32_e32 v6, v54                                      // 000000006720: 7E0C0336
	s_mov_b64 s[60:61], 0                                      // 000000006724: BEBC0180
	v_readlane_b32 s82, v3, 4                                  // 000000006728: D2890052 00010903
	s_and_b32 s82, s82, 0xffffff                               // 000000006730: 8652FF52 00FFFFFF
	s_cmp_lt_u32 s82, s66                                      // 000000006738: BF0A4252
	s_cselect_b32 s20, s36, s60                                // 00000000673C: 85143C24
	v_readlane_b32 s82, v3, 5                                  // 000000006740: D2890052 00010B03
	s_and_b32 s82, s82, 0xffffff                               // 000000006748: 8652FF52 00FFFFFF
	s_cmp_lt_u32 s82, s66                                      // 000000006750: BF0A4252
	s_cselect_b32 s21, s36, s60                                // 000000006754: 85153C24
	s_mov_b64 exec, s[20:21]                                   // 000000006758: BEFE0114
	global_atomic_add_f32 v6, v76, s[8:9]                      // 00000000675C: DD348000 00084C06
	global_atomic_add_f32 v6, v80, s[8:9] offset:256           // 000000006764: DD348100 00085006
	s_mov_b64 exec, s[36:37]                                   // 00000000676C: BEFE0124
	v_mov_b32_e32 v6, v55                                      // 000000006770: 7E0C0337
	s_mov_b64 s[60:61], 0                                      // 000000006774: BEBC0180
	v_readlane_b32 s82, v3, 6                                  // 000000006778: D2890052 00010D03
	s_and_b32 s82, s82, 0xffffff                               // 000000006780: 8652FF52 00FFFFFF
	s_cmp_lt_u32 s82, s66                                      // 000000006788: BF0A4252
	s_cselect_b32 s20, s36, s60                                // 00000000678C: 85143C24
	v_readlane_b32 s82, v3, 7                                  // 000000006790: D2890052 00010F03
	s_and_b32 s82, s82, 0xffffff                               // 000000006798: 8652FF52 00FFFFFF
	s_cmp_lt_u32 s82, s66                                      // 0000000067A0: BF0A4252
	s_cselect_b32 s21, s36, s60                                // 0000000067A4: 85153C24
	s_mov_b64 exec, s[20:21]                                   // 0000000067A8: BEFE0114
	global_atomic_add_f32 v6, v77, s[8:9]                      // 0000000067AC: DD348000 00084D06
	global_atomic_add_f32 v6, v81, s[8:9] offset:256           // 0000000067B4: DD348100 00085106
	s_mov_b64 exec, s[36:37]                                   // 0000000067BC: BEFE0124
	v_mov_b32_e32 v6, v56                                      // 0000000067C0: 7E0C0338
	s_mov_b64 s[60:61], 0                                      // 0000000067C4: BEBC0180
	v_readlane_b32 s82, v3, 8                                  // 0000000067C8: D2890052 00011103
	s_and_b32 s82, s82, 0xffffff                               // 0000000067D0: 8652FF52 00FFFFFF
	s_cmp_lt_u32 s82, s66                                      // 0000000067D8: BF0A4252
	s_cselect_b32 s20, s36, s60                                // 0000000067DC: 85143C24
	v_readlane_b32 s82, v3, 9                                  // 0000000067E0: D2890052 00011303
	s_and_b32 s82, s82, 0xffffff                               // 0000000067E8: 8652FF52 00FFFFFF
	s_cmp_lt_u32 s82, s66                                      // 0000000067F0: BF0A4252
	s_cselect_b32 s21, s36, s60                                // 0000000067F4: 85153C24
	s_mov_b64 exec, s[20:21]                                   // 0000000067F8: BEFE0114
	global_atomic_add_f32 v6, v84, s[8:9]                      // 0000000067FC: DD348000 00085406
	global_atomic_add_f32 v6, v88, s[8:9] offset:256           // 000000006804: DD348100 00085806
	s_mov_b64 exec, s[36:37]                                   // 00000000680C: BEFE0124
	v_mov_b32_e32 v6, v57                                      // 000000006810: 7E0C0339
	s_mov_b64 s[60:61], 0                                      // 000000006814: BEBC0180
	v_readlane_b32 s82, v3, 10                                 // 000000006818: D2890052 00011503
	s_and_b32 s82, s82, 0xffffff                               // 000000006820: 8652FF52 00FFFFFF
	s_cmp_lt_u32 s82, s66                                      // 000000006828: BF0A4252
	s_cselect_b32 s20, s36, s60                                // 00000000682C: 85143C24
	v_readlane_b32 s82, v3, 11                                 // 000000006830: D2890052 00011703
	s_and_b32 s82, s82, 0xffffff                               // 000000006838: 8652FF52 00FFFFFF
	s_cmp_lt_u32 s82, s66                                      // 000000006840: BF0A4252
	s_cselect_b32 s21, s36, s60                                // 000000006844: 85153C24
	s_mov_b64 exec, s[20:21]                                   // 000000006848: BEFE0114
	global_atomic_add_f32 v6, v85, s[8:9]                      // 00000000684C: DD348000 00085506
	global_atomic_add_f32 v6, v89, s[8:9] offset:256           // 000000006854: DD348100 00085906
	s_mov_b64 exec, s[36:37]                                   // 00000000685C: BEFE0124
	v_mov_b32_e32 v6, v58                                      // 000000006860: 7E0C033A
	s_mov_b64 s[60:61], 0                                      // 000000006864: BEBC0180
	v_readlane_b32 s82, v3, 12                                 // 000000006868: D2890052 00011903
	s_and_b32 s82, s82, 0xffffff                               // 000000006870: 8652FF52 00FFFFFF
	s_cmp_lt_u32 s82, s66                                      // 000000006878: BF0A4252
	s_cselect_b32 s20, s36, s60                                // 00000000687C: 85143C24
	v_readlane_b32 s82, v3, 13                                 // 000000006880: D2890052 00011B03
	s_and_b32 s82, s82, 0xffffff                               // 000000006888: 8652FF52 00FFFFFF
	s_cmp_lt_u32 s82, s66                                      // 000000006890: BF0A4252
	s_cselect_b32 s21, s36, s60                                // 000000006894: 85153C24
	s_mov_b64 exec, s[20:21]                                   // 000000006898: BEFE0114
	global_atomic_add_f32 v6, v92, s[8:9]                      // 00000000689C: DD348000 00085C06
	global_atomic_add_f32 v6, v96, s[8:9] offset:256           // 0000000068A4: DD348100 00086006
	s_mov_b64 exec, s[36:37]                                   // 0000000068AC: BEFE0124
	v_mov_b32_e32 v6, v59                                      // 0000000068B0: 7E0C033B
	s_mov_b64 s[60:61], 0                                      // 0000000068B4: BEBC0180
	v_readlane_b32 s82, v3, 14                                 // 0000000068B8: D2890052 00011D03
	s_and_b32 s82, s82, 0xffffff                               // 0000000068C0: 8652FF52 00FFFFFF
	s_cmp_lt_u32 s82, s66                                      // 0000000068C8: BF0A4252
	s_cselect_b32 s20, s36, s60                                // 0000000068CC: 85143C24
	v_readlane_b32 s82, v3, 15                                 // 0000000068D0: D2890052 00011F03
	s_and_b32 s82, s82, 0xffffff                               // 0000000068D8: 8652FF52 00FFFFFF
	s_cmp_lt_u32 s82, s66                                      // 0000000068E0: BF0A4252
	s_cselect_b32 s21, s36, s60                                // 0000000068E4: 85153C24
	s_mov_b64 exec, s[20:21]                                   // 0000000068E8: BEFE0114
	global_atomic_add_f32 v6, v93, s[8:9]                      // 0000000068EC: DD348000 00085D06
	global_atomic_add_f32 v6, v97, s[8:9] offset:256           // 0000000068F4: DD348100 00086106
	s_mov_b64 exec, s[36:37]                                   // 0000000068FC: BEFE0124
	v_mov_b32_e32 v6, v60                                      // 000000006900: 7E0C033C
	s_mov_b64 s[60:61], 0                                      // 000000006904: BEBC0180
	v_readlane_b32 s82, v3, 16                                 // 000000006908: D2890052 00012103
	s_and_b32 s82, s82, 0xffffff                               // 000000006910: 8652FF52 00FFFFFF
	s_cmp_lt_u32 s82, s66                                      // 000000006918: BF0A4252
	s_cselect_b32 s20, s36, s60                                // 00000000691C: 85143C24
	v_readlane_b32 s82, v3, 17                                 // 000000006920: D2890052 00012303
	s_and_b32 s82, s82, 0xffffff                               // 000000006928: 8652FF52 00FFFFFF
	s_cmp_lt_u32 s82, s66                                      // 000000006930: BF0A4252
	s_cselect_b32 s21, s36, s60                                // 000000006934: 85153C24
	s_mov_b64 exec, s[20:21]                                   // 000000006938: BEFE0114
	global_atomic_add_f32 v6, v100, s[8:9]                     // 00000000693C: DD348000 00086406
	global_atomic_add_f32 v6, v104, s[8:9] offset:256          // 000000006944: DD348100 00086806
	s_mov_b64 exec, s[36:37]                                   // 00000000694C: BEFE0124
	v_mov_b32_e32 v6, v61                                      // 000000006950: 7E0C033D
	s_mov_b64 s[60:61], 0                                      // 000000006954: BEBC0180
	v_readlane_b32 s82, v3, 18                                 // 000000006958: D2890052 00012503
	s_and_b32 s82, s82, 0xffffff                               // 000000006960: 8652FF52 00FFFFFF
	s_cmp_lt_u32 s82, s66                                      // 000000006968: BF0A4252
	s_cselect_b32 s20, s36, s60                                // 00000000696C: 85143C24
	v_readlane_b32 s82, v3, 19                                 // 000000006970: D2890052 00012703
	s_and_b32 s82, s82, 0xffffff                               // 000000006978: 8652FF52 00FFFFFF
	s_cmp_lt_u32 s82, s66                                      // 000000006980: BF0A4252
	s_cselect_b32 s21, s36, s60                                // 000000006984: 85153C24
	s_mov_b64 exec, s[20:21]                                   // 000000006988: BEFE0114
	global_atomic_add_f32 v6, v101, s[8:9]                     // 00000000698C: DD348000 00086506
	global_atomic_add_f32 v6, v105, s[8:9] offset:256          // 000000006994: DD348100 00086906
	s_mov_b64 exec, s[36:37]                                   // 00000000699C: BEFE0124
	v_mov_b32_e32 v6, v62                                      // 0000000069A0: 7E0C033E
	s_mov_b64 s[60:61], 0                                      // 0000000069A4: BEBC0180
	v_readlane_b32 s82, v3, 20                                 // 0000000069A8: D2890052 00012903
	s_and_b32 s82, s82, 0xffffff                               // 0000000069B0: 8652FF52 00FFFFFF
	s_cmp_lt_u32 s82, s66                                      // 0000000069B8: BF0A4252
	s_cselect_b32 s20, s36, s60                                // 0000000069BC: 85143C24
	v_readlane_b32 s82, v3, 21                                 // 0000000069C0: D2890052 00012B03
	s_and_b32 s82, s82, 0xffffff                               // 0000000069C8: 8652FF52 00FFFFFF
	s_cmp_lt_u32 s82, s66                                      // 0000000069D0: BF0A4252
	s_cselect_b32 s21, s36, s60                                // 0000000069D4: 85153C24
	s_mov_b64 exec, s[20:21]                                   // 0000000069D8: BEFE0114
	global_atomic_add_f32 v6, v108, s[8:9]                     // 0000000069DC: DD348000 00086C06
	global_atomic_add_f32 v6, v112, s[8:9] offset:256          // 0000000069E4: DD348100 00087006
	s_mov_b64 exec, s[36:37]                                   // 0000000069EC: BEFE0124
	v_mov_b32_e32 v6, v63                                      // 0000000069F0: 7E0C033F
	s_mov_b64 s[60:61], 0                                      // 0000000069F4: BEBC0180
	v_readlane_b32 s82, v3, 22                                 // 0000000069F8: D2890052 00012D03
	s_and_b32 s82, s82, 0xffffff                               // 000000006A00: 8652FF52 00FFFFFF
	s_cmp_lt_u32 s82, s66                                      // 000000006A08: BF0A4252
	s_cselect_b32 s20, s36, s60                                // 000000006A0C: 85143C24
	v_readlane_b32 s82, v3, 23                                 // 000000006A10: D2890052 00012F03
	s_and_b32 s82, s82, 0xffffff                               // 000000006A18: 8652FF52 00FFFFFF
	s_cmp_lt_u32 s82, s66                                      // 000000006A20: BF0A4252
	s_cselect_b32 s21, s36, s60                                // 000000006A24: 85153C24
	s_mov_b64 exec, s[20:21]                                   // 000000006A28: BEFE0114
	global_atomic_add_f32 v6, v109, s[8:9]                     // 000000006A2C: DD348000 00086D06
	global_atomic_add_f32 v6, v113, s[8:9] offset:256          // 000000006A34: DD348100 00087106
	s_mov_b64 exec, s[36:37]                                   // 000000006A3C: BEFE0124
	ds_write_b64 v20, v[70:71]                                 // 000000006A40: D89A0000 00004614
	ds_write_b64 v20, v[74:75] offset:4352                     // 000000006A48: D89A1100 00004A14
	ds_write_b64 v20, v[78:79] offset:8704                     // 000000006A50: D89A2200 00004E14
	ds_write_b64 v20, v[82:83] offset:13056                    // 000000006A58: D89A3300 00005214
	ds_write_b64 v20, v[86:87] offset:17408                    // 000000006A60: D89A4400 00005614
	ds_write_b64 v20, v[90:91] offset:21760                    // 000000006A68: D89A5500 00005A14
	ds_write_b64 v20, v[94:95] offset:2176                     // 000000006A70: D89A0880 00005E14
	ds_write_b64 v20, v[98:99] offset:6528                     // 000000006A78: D89A1980 00006214
	ds_write_b64 v20, v[102:103] offset:10880                  // 000000006A80: D89A2A80 00006614
	ds_write_b64 v20, v[106:107] offset:15232                  // 000000006A88: D89A3B80 00006A14
	ds_write_b64 v20, v[110:111] offset:19584                  // 000000006A90: D89A4C80 00006E14
	ds_write_b64 v20, v[114:115] offset:23936                  // 000000006A98: D89A5D80 00007214
	s_waitcnt lgkmcnt(0)                                       // 000000006AA0: BF8CC07F
	s_barrier                                                  // 000000006AA4: BF8A0000
	ds_read_b32 v70, v21                                       // 000000006AA8: D86C0000 46000015
	ds_read_b32 v71, v21 offset:64                             // 000000006AB0: D86C0040 47000015
	ds_read_b32 v74, v21 offset:2176                           // 000000006AB8: D86C0880 4A000015
	ds_read_b32 v75, v21 offset:2240                           // 000000006AC0: D86C08C0 4B000015
	ds_read_b32 v78, v21 offset:4352                           // 000000006AC8: D86C1100 4E000015
	ds_read_b32 v79, v21 offset:4416                           // 000000006AD0: D86C1140 4F000015
	ds_read_b32 v82, v21 offset:6528                           // 000000006AD8: D86C1980 52000015
	ds_read_b32 v83, v21 offset:6592                           // 000000006AE0: D86C19C0 53000015
	ds_read_b32 v86, v21 offset:8704                           // 000000006AE8: D86C2200 56000015
	ds_read_b32 v87, v21 offset:8768                           // 000000006AF0: D86C2240 57000015
	ds_read_b32 v90, v21 offset:10880                          // 000000006AF8: D86C2A80 5A000015
	ds_read_b32 v91, v21 offset:10944                          // 000000006B00: D86C2AC0 5B000015
	ds_read_b32 v94, v21 offset:13056                          // 000000006B08: D86C3300 5E000015
	ds_read_b32 v95, v21 offset:13120                          // 000000006B10: D86C3340 5F000015
	ds_read_b32 v98, v21 offset:15232                          // 000000006B18: D86C3B80 62000015
	ds_read_b32 v99, v21 offset:15296                          // 000000006B20: D86C3BC0 63000015
	ds_read_b32 v102, v21 offset:17408                         // 000000006B28: D86C4400 66000015
	ds_read_b32 v103, v21 offset:17472                         // 000000006B30: D86C4440 67000015
	ds_read_b32 v106, v21 offset:19584                         // 000000006B38: D86C4C80 6A000015
	ds_read_b32 v107, v21 offset:19648                         // 000000006B40: D86C4CC0 6B000015
	ds_read_b32 v110, v21 offset:21760                         // 000000006B48: D86C5500 6E000015
	ds_read_b32 v111, v21 offset:21824                         // 000000006B50: D86C5540 6F000015
	ds_read_b32 v114, v21 offset:23936                         // 000000006B58: D86C5D80 72000015
	ds_read_b32 v115, v21 offset:24000                         // 000000006B60: D86C5DC0 73000015
	s_waitcnt lgkmcnt(0)                                       // 000000006B68: BF8CC07F
	v_mov_b32_e32 v7, 0                                        // 000000006B6C: 7E0E0280
	s_mov_b64 exec, s[36:37]                                   // 000000006B70: BEFE0124
	v_mov_b32_e32 v6, v52                                      // 000000006B74: 7E0C0334
	s_mov_b64 s[60:61], 0                                      // 000000006B78: BEBC0180
	v_readlane_b32 s82, v3, 0                                  // 000000006B7C: D2890052 00010103
	s_and_b32 s82, s82, 0xffffff                               // 000000006B84: 8652FF52 00FFFFFF
	s_cmp_lt_u32 s82, s66                                      // 000000006B8C: BF0A4252
	s_cselect_b32 s20, s36, s60                                // 000000006B90: 85143C24
	v_readlane_b32 s82, v3, 1                                  // 000000006B94: D2890052 00010303
	s_and_b32 s82, s82, 0xffffff                               // 000000006B9C: 8652FF52 00FFFFFF
	s_cmp_lt_u32 s82, s66                                      // 000000006BA4: BF0A4252
	s_cselect_b32 s21, s36, s60                                // 000000006BA8: 85153C24
	s_mov_b64 exec, s[20:21]                                   // 000000006BAC: BEFE0114
	global_atomic_add_f32 v6, v70, s[8:9] offset:8             // 000000006BB0: DD348008 00084606
	global_atomic_add_f32 v6, v74, s[8:9] offset:264           // 000000006BB8: DD348108 00084A06
	s_mov_b64 exec, s[36:37]                                   // 000000006BC0: BEFE0124
	v_mov_b32_e32 v6, v53                                      // 000000006BC4: 7E0C0335
	s_mov_b64 s[60:61], 0                                      // 000000006BC8: BEBC0180
	v_readlane_b32 s82, v3, 2                                  // 000000006BCC: D2890052 00010503
	s_and_b32 s82, s82, 0xffffff                               // 000000006BD4: 8652FF52 00FFFFFF
	s_cmp_lt_u32 s82, s66                                      // 000000006BDC: BF0A4252
	s_cselect_b32 s20, s36, s60                                // 000000006BE0: 85143C24
	v_readlane_b32 s82, v3, 3                                  // 000000006BE4: D2890052 00010703
	s_and_b32 s82, s82, 0xffffff                               // 000000006BEC: 8652FF52 00FFFFFF
	s_cmp_lt_u32 s82, s66                                      // 000000006BF4: BF0A4252
	s_cselect_b32 s21, s36, s60                                // 000000006BF8: 85153C24
	s_mov_b64 exec, s[20:21]                                   // 000000006BFC: BEFE0114
	global_atomic_add_f32 v6, v71, s[8:9] offset:8             // 000000006C00: DD348008 00084706
	global_atomic_add_f32 v6, v75, s[8:9] offset:264           // 000000006C08: DD348108 00084B06
	s_mov_b64 exec, s[36:37]                                   // 000000006C10: BEFE0124
	v_mov_b32_e32 v6, v54                                      // 000000006C14: 7E0C0336
	s_mov_b64 s[60:61], 0                                      // 000000006C18: BEBC0180
	v_readlane_b32 s82, v3, 4                                  // 000000006C1C: D2890052 00010903
	s_and_b32 s82, s82, 0xffffff                               // 000000006C24: 8652FF52 00FFFFFF
	s_cmp_lt_u32 s82, s66                                      // 000000006C2C: BF0A4252
	s_cselect_b32 s20, s36, s60                                // 000000006C30: 85143C24
	v_readlane_b32 s82, v3, 5                                  // 000000006C34: D2890052 00010B03
	s_and_b32 s82, s82, 0xffffff                               // 000000006C3C: 8652FF52 00FFFFFF
	s_cmp_lt_u32 s82, s66                                      // 000000006C44: BF0A4252
	s_cselect_b32 s21, s36, s60                                // 000000006C48: 85153C24
	s_mov_b64 exec, s[20:21]                                   // 000000006C4C: BEFE0114
	global_atomic_add_f32 v6, v78, s[8:9] offset:8             // 000000006C50: DD348008 00084E06
	global_atomic_add_f32 v6, v82, s[8:9] offset:264           // 000000006C58: DD348108 00085206
	s_mov_b64 exec, s[36:37]                                   // 000000006C60: BEFE0124
	v_mov_b32_e32 v6, v55                                      // 000000006C64: 7E0C0337
	s_mov_b64 s[60:61], 0                                      // 000000006C68: BEBC0180
	v_readlane_b32 s82, v3, 6                                  // 000000006C6C: D2890052 00010D03
	s_and_b32 s82, s82, 0xffffff                               // 000000006C74: 8652FF52 00FFFFFF
	s_cmp_lt_u32 s82, s66                                      // 000000006C7C: BF0A4252
	s_cselect_b32 s20, s36, s60                                // 000000006C80: 85143C24
	v_readlane_b32 s82, v3, 7                                  // 000000006C84: D2890052 00010F03
	s_and_b32 s82, s82, 0xffffff                               // 000000006C8C: 8652FF52 00FFFFFF
	s_cmp_lt_u32 s82, s66                                      // 000000006C94: BF0A4252
	s_cselect_b32 s21, s36, s60                                // 000000006C98: 85153C24
	s_mov_b64 exec, s[20:21]                                   // 000000006C9C: BEFE0114
	global_atomic_add_f32 v6, v79, s[8:9] offset:8             // 000000006CA0: DD348008 00084F06
	global_atomic_add_f32 v6, v83, s[8:9] offset:264           // 000000006CA8: DD348108 00085306
	s_mov_b64 exec, s[36:37]                                   // 000000006CB0: BEFE0124
	v_mov_b32_e32 v6, v56                                      // 000000006CB4: 7E0C0338
	s_mov_b64 s[60:61], 0                                      // 000000006CB8: BEBC0180
	v_readlane_b32 s82, v3, 8                                  // 000000006CBC: D2890052 00011103
	s_and_b32 s82, s82, 0xffffff                               // 000000006CC4: 8652FF52 00FFFFFF
	s_cmp_lt_u32 s82, s66                                      // 000000006CCC: BF0A4252
	s_cselect_b32 s20, s36, s60                                // 000000006CD0: 85143C24
	v_readlane_b32 s82, v3, 9                                  // 000000006CD4: D2890052 00011303
	s_and_b32 s82, s82, 0xffffff                               // 000000006CDC: 8652FF52 00FFFFFF
	s_cmp_lt_u32 s82, s66                                      // 000000006CE4: BF0A4252
	s_cselect_b32 s21, s36, s60                                // 000000006CE8: 85153C24
	s_mov_b64 exec, s[20:21]                                   // 000000006CEC: BEFE0114
	global_atomic_add_f32 v6, v86, s[8:9] offset:8             // 000000006CF0: DD348008 00085606
	global_atomic_add_f32 v6, v90, s[8:9] offset:264           // 000000006CF8: DD348108 00085A06
	s_mov_b64 exec, s[36:37]                                   // 000000006D00: BEFE0124
	v_mov_b32_e32 v6, v57                                      // 000000006D04: 7E0C0339
	s_mov_b64 s[60:61], 0                                      // 000000006D08: BEBC0180
	v_readlane_b32 s82, v3, 10                                 // 000000006D0C: D2890052 00011503
	s_and_b32 s82, s82, 0xffffff                               // 000000006D14: 8652FF52 00FFFFFF
	s_cmp_lt_u32 s82, s66                                      // 000000006D1C: BF0A4252
	s_cselect_b32 s20, s36, s60                                // 000000006D20: 85143C24
	v_readlane_b32 s82, v3, 11                                 // 000000006D24: D2890052 00011703
	s_and_b32 s82, s82, 0xffffff                               // 000000006D2C: 8652FF52 00FFFFFF
	s_cmp_lt_u32 s82, s66                                      // 000000006D34: BF0A4252
	s_cselect_b32 s21, s36, s60                                // 000000006D38: 85153C24
	s_mov_b64 exec, s[20:21]                                   // 000000006D3C: BEFE0114
	global_atomic_add_f32 v6, v87, s[8:9] offset:8             // 000000006D40: DD348008 00085706
	global_atomic_add_f32 v6, v91, s[8:9] offset:264           // 000000006D48: DD348108 00085B06
	s_mov_b64 exec, s[36:37]                                   // 000000006D50: BEFE0124
	v_mov_b32_e32 v6, v58                                      // 000000006D54: 7E0C033A
	s_mov_b64 s[60:61], 0                                      // 000000006D58: BEBC0180
	v_readlane_b32 s82, v3, 12                                 // 000000006D5C: D2890052 00011903
	s_and_b32 s82, s82, 0xffffff                               // 000000006D64: 8652FF52 00FFFFFF
	s_cmp_lt_u32 s82, s66                                      // 000000006D6C: BF0A4252
	s_cselect_b32 s20, s36, s60                                // 000000006D70: 85143C24
	v_readlane_b32 s82, v3, 13                                 // 000000006D74: D2890052 00011B03
	s_and_b32 s82, s82, 0xffffff                               // 000000006D7C: 8652FF52 00FFFFFF
	s_cmp_lt_u32 s82, s66                                      // 000000006D84: BF0A4252
	s_cselect_b32 s21, s36, s60                                // 000000006D88: 85153C24
	s_mov_b64 exec, s[20:21]                                   // 000000006D8C: BEFE0114
	global_atomic_add_f32 v6, v94, s[8:9] offset:8             // 000000006D90: DD348008 00085E06
	global_atomic_add_f32 v6, v98, s[8:9] offset:264           // 000000006D98: DD348108 00086206
	s_mov_b64 exec, s[36:37]                                   // 000000006DA0: BEFE0124
	v_mov_b32_e32 v6, v59                                      // 000000006DA4: 7E0C033B
	s_mov_b64 s[60:61], 0                                      // 000000006DA8: BEBC0180
	v_readlane_b32 s82, v3, 14                                 // 000000006DAC: D2890052 00011D03
	s_and_b32 s82, s82, 0xffffff                               // 000000006DB4: 8652FF52 00FFFFFF
	s_cmp_lt_u32 s82, s66                                      // 000000006DBC: BF0A4252
	s_cselect_b32 s20, s36, s60                                // 000000006DC0: 85143C24
	v_readlane_b32 s82, v3, 15                                 // 000000006DC4: D2890052 00011F03
	s_and_b32 s82, s82, 0xffffff                               // 000000006DCC: 8652FF52 00FFFFFF
	s_cmp_lt_u32 s82, s66                                      // 000000006DD4: BF0A4252
	s_cselect_b32 s21, s36, s60                                // 000000006DD8: 85153C24
	s_mov_b64 exec, s[20:21]                                   // 000000006DDC: BEFE0114
	global_atomic_add_f32 v6, v95, s[8:9] offset:8             // 000000006DE0: DD348008 00085F06
	global_atomic_add_f32 v6, v99, s[8:9] offset:264           // 000000006DE8: DD348108 00086306
	s_mov_b64 exec, s[36:37]                                   // 000000006DF0: BEFE0124
	v_mov_b32_e32 v6, v60                                      // 000000006DF4: 7E0C033C
	s_mov_b64 s[60:61], 0                                      // 000000006DF8: BEBC0180
	v_readlane_b32 s82, v3, 16                                 // 000000006DFC: D2890052 00012103
	s_and_b32 s82, s82, 0xffffff                               // 000000006E04: 8652FF52 00FFFFFF
	s_cmp_lt_u32 s82, s66                                      // 000000006E0C: BF0A4252
	s_cselect_b32 s20, s36, s60                                // 000000006E10: 85143C24
	v_readlane_b32 s82, v3, 17                                 // 000000006E14: D2890052 00012303
	s_and_b32 s82, s82, 0xffffff                               // 000000006E1C: 8652FF52 00FFFFFF
	s_cmp_lt_u32 s82, s66                                      // 000000006E24: BF0A4252
	s_cselect_b32 s21, s36, s60                                // 000000006E28: 85153C24
	s_mov_b64 exec, s[20:21]                                   // 000000006E2C: BEFE0114
	global_atomic_add_f32 v6, v102, s[8:9] offset:8            // 000000006E30: DD348008 00086606
	global_atomic_add_f32 v6, v106, s[8:9] offset:264          // 000000006E38: DD348108 00086A06
	s_mov_b64 exec, s[36:37]                                   // 000000006E40: BEFE0124
	v_mov_b32_e32 v6, v61                                      // 000000006E44: 7E0C033D
	s_mov_b64 s[60:61], 0                                      // 000000006E48: BEBC0180
	v_readlane_b32 s82, v3, 18                                 // 000000006E4C: D2890052 00012503
	s_and_b32 s82, s82, 0xffffff                               // 000000006E54: 8652FF52 00FFFFFF
	s_cmp_lt_u32 s82, s66                                      // 000000006E5C: BF0A4252
	s_cselect_b32 s20, s36, s60                                // 000000006E60: 85143C24
	v_readlane_b32 s82, v3, 19                                 // 000000006E64: D2890052 00012703
	s_and_b32 s82, s82, 0xffffff                               // 000000006E6C: 8652FF52 00FFFFFF
	s_cmp_lt_u32 s82, s66                                      // 000000006E74: BF0A4252
	s_cselect_b32 s21, s36, s60                                // 000000006E78: 85153C24
	s_mov_b64 exec, s[20:21]                                   // 000000006E7C: BEFE0114
	global_atomic_add_f32 v6, v103, s[8:9] offset:8            // 000000006E80: DD348008 00086706
	global_atomic_add_f32 v6, v107, s[8:9] offset:264          // 000000006E88: DD348108 00086B06
	s_mov_b64 exec, s[36:37]                                   // 000000006E90: BEFE0124
	v_mov_b32_e32 v6, v62                                      // 000000006E94: 7E0C033E
	s_mov_b64 s[60:61], 0                                      // 000000006E98: BEBC0180
	v_readlane_b32 s82, v3, 20                                 // 000000006E9C: D2890052 00012903
	s_and_b32 s82, s82, 0xffffff                               // 000000006EA4: 8652FF52 00FFFFFF
	s_cmp_lt_u32 s82, s66                                      // 000000006EAC: BF0A4252
	s_cselect_b32 s20, s36, s60                                // 000000006EB0: 85143C24
	v_readlane_b32 s82, v3, 21                                 // 000000006EB4: D2890052 00012B03
	s_and_b32 s82, s82, 0xffffff                               // 000000006EBC: 8652FF52 00FFFFFF
	s_cmp_lt_u32 s82, s66                                      // 000000006EC4: BF0A4252
	s_cselect_b32 s21, s36, s60                                // 000000006EC8: 85153C24
	s_mov_b64 exec, s[20:21]                                   // 000000006ECC: BEFE0114
	global_atomic_add_f32 v6, v110, s[8:9] offset:8            // 000000006ED0: DD348008 00086E06
	global_atomic_add_f32 v6, v114, s[8:9] offset:264          // 000000006ED8: DD348108 00087206
	s_mov_b64 exec, s[36:37]                                   // 000000006EE0: BEFE0124
	v_mov_b32_e32 v6, v63                                      // 000000006EE4: 7E0C033F
	s_mov_b64 s[60:61], 0                                      // 000000006EE8: BEBC0180
	v_readlane_b32 s82, v3, 22                                 // 000000006EEC: D2890052 00012D03
	s_and_b32 s82, s82, 0xffffff                               // 000000006EF4: 8652FF52 00FFFFFF
	s_cmp_lt_u32 s82, s66                                      // 000000006EFC: BF0A4252
	s_cselect_b32 s20, s36, s60                                // 000000006F00: 85143C24
	v_readlane_b32 s82, v3, 23                                 // 000000006F04: D2890052 00012F03
	s_and_b32 s82, s82, 0xffffff                               // 000000006F0C: 8652FF52 00FFFFFF
	s_cmp_lt_u32 s82, s66                                      // 000000006F14: BF0A4252
	s_cselect_b32 s21, s36, s60                                // 000000006F18: 85153C24
	s_mov_b64 exec, s[20:21]                                   // 000000006F1C: BEFE0114
	global_atomic_add_f32 v6, v111, s[8:9] offset:8            // 000000006F20: DD348008 00086F06
	global_atomic_add_f32 v6, v115, s[8:9] offset:264          // 000000006F28: DD348108 00087306
	s_mov_b64 exec, s[36:37]                                   // 000000006F30: BEFE0124
	ds_write_b64 v20, v[116:117]                               // 000000006F34: D89A0000 00007414
	ds_write_b64 v20, v[120:121] offset:4352                   // 000000006F3C: D89A1100 00007814
	ds_write_b64 v20, v[124:125] offset:8704                   // 000000006F44: D89A2200 00007C14
	ds_write_b64 v20, v[128:129] offset:13056                  // 000000006F4C: D89A3300 00008014
	ds_write_b64 v20, v[132:133] offset:17408                  // 000000006F54: D89A4400 00008414
	ds_write_b64 v20, v[136:137] offset:21760                  // 000000006F5C: D89A5500 00008814
	ds_write_b64 v20, v[140:141] offset:2176                   // 000000006F64: D89A0880 00008C14
	ds_write_b64 v20, v[144:145] offset:6528                   // 000000006F6C: D89A1980 00009014
	ds_write_b64 v20, v[148:149] offset:10880                  // 000000006F74: D89A2A80 00009414
	ds_write_b64 v20, v[152:153] offset:15232                  // 000000006F7C: D89A3B80 00009814
	ds_write_b64 v20, v[156:157] offset:19584                  // 000000006F84: D89A4C80 00009C14
	ds_write_b64 v20, v[160:161] offset:23936                  // 000000006F8C: D89A5D80 0000A014
	s_waitcnt lgkmcnt(0)                                       // 000000006F94: BF8CC07F
	s_barrier                                                  // 000000006F98: BF8A0000
	ds_read_b32 v116, v21                                      // 000000006F9C: D86C0000 74000015
	ds_read_b32 v117, v21 offset:64                            // 000000006FA4: D86C0040 75000015
	ds_read_b32 v120, v21 offset:2176                          // 000000006FAC: D86C0880 78000015
	ds_read_b32 v121, v21 offset:2240                          // 000000006FB4: D86C08C0 79000015
	ds_read_b32 v124, v21 offset:4352                          // 000000006FBC: D86C1100 7C000015
	ds_read_b32 v125, v21 offset:4416                          // 000000006FC4: D86C1140 7D000015
	ds_read_b32 v128, v21 offset:6528                          // 000000006FCC: D86C1980 80000015
	ds_read_b32 v129, v21 offset:6592                          // 000000006FD4: D86C19C0 81000015
	ds_read_b32 v132, v21 offset:8704                          // 000000006FDC: D86C2200 84000015
	ds_read_b32 v133, v21 offset:8768                          // 000000006FE4: D86C2240 85000015
	ds_read_b32 v136, v21 offset:10880                         // 000000006FEC: D86C2A80 88000015
	ds_read_b32 v137, v21 offset:10944                         // 000000006FF4: D86C2AC0 89000015
	ds_read_b32 v140, v21 offset:13056                         // 000000006FFC: D86C3300 8C000015
	ds_read_b32 v141, v21 offset:13120                         // 000000007004: D86C3340 8D000015
	ds_read_b32 v144, v21 offset:15232                         // 00000000700C: D86C3B80 90000015
	ds_read_b32 v145, v21 offset:15296                         // 000000007014: D86C3BC0 91000015
	ds_read_b32 v148, v21 offset:17408                         // 00000000701C: D86C4400 94000015
	ds_read_b32 v149, v21 offset:17472                         // 000000007024: D86C4440 95000015
	ds_read_b32 v152, v21 offset:19584                         // 00000000702C: D86C4C80 98000015
	ds_read_b32 v153, v21 offset:19648                         // 000000007034: D86C4CC0 99000015
	ds_read_b32 v156, v21 offset:21760                         // 00000000703C: D86C5500 9C000015
	ds_read_b32 v157, v21 offset:21824                         // 000000007044: D86C5540 9D000015
	ds_read_b32 v160, v21 offset:23936                         // 00000000704C: D86C5D80 A0000015
	ds_read_b32 v161, v21 offset:24000                         // 000000007054: D86C5DC0 A1000015
	s_mul_i32 s60, s65, 4                                      // 00000000705C: 923C8441
	s_add_u32 s8, s60, s8                                      // 000000007060: 8008083C
	s_addc_u32 s9, 0, s9                                       // 000000007064: 82090980
	s_waitcnt lgkmcnt(0)                                       // 000000007068: BF8CC07F
	v_mov_b32_e32 v7, 0                                        // 00000000706C: 7E0E0280
	s_mov_b64 exec, s[36:37]                                   // 000000007070: BEFE0124
	v_mov_b32_e32 v6, v52                                      // 000000007074: 7E0C0334
	s_mov_b64 s[60:61], 0                                      // 000000007078: BEBC0180
	v_readlane_b32 s82, v3, 0                                  // 00000000707C: D2890052 00010103
	s_and_b32 s82, s82, 0xffffff                               // 000000007084: 8652FF52 00FFFFFF
	s_cmp_lt_u32 s82, s66                                      // 00000000708C: BF0A4252
	s_cselect_b32 s20, s36, s60                                // 000000007090: 85143C24
	v_readlane_b32 s82, v3, 1                                  // 000000007094: D2890052 00010303
	s_and_b32 s82, s82, 0xffffff                               // 00000000709C: 8652FF52 00FFFFFF
	s_cmp_lt_u32 s82, s66                                      // 0000000070A4: BF0A4252
	s_cselect_b32 s21, s36, s60                                // 0000000070A8: 85153C24
	s_mov_b64 exec, s[20:21]                                   // 0000000070AC: BEFE0114
	global_atomic_add_f32 v6, v116, s[8:9]                     // 0000000070B0: DD348000 00087406
	global_atomic_add_f32 v6, v120, s[8:9] offset:256          // 0000000070B8: DD348100 00087806
	s_mov_b64 exec, s[36:37]                                   // 0000000070C0: BEFE0124
	v_mov_b32_e32 v6, v53                                      // 0000000070C4: 7E0C0335
	s_mov_b64 s[60:61], 0                                      // 0000000070C8: BEBC0180
	v_readlane_b32 s82, v3, 2                                  // 0000000070CC: D2890052 00010503
	s_and_b32 s82, s82, 0xffffff                               // 0000000070D4: 8652FF52 00FFFFFF
	s_cmp_lt_u32 s82, s66                                      // 0000000070DC: BF0A4252
	s_cselect_b32 s20, s36, s60                                // 0000000070E0: 85143C24
	v_readlane_b32 s82, v3, 3                                  // 0000000070E4: D2890052 00010703
	s_and_b32 s82, s82, 0xffffff                               // 0000000070EC: 8652FF52 00FFFFFF
	s_cmp_lt_u32 s82, s66                                      // 0000000070F4: BF0A4252
	s_cselect_b32 s21, s36, s60                                // 0000000070F8: 85153C24
	s_mov_b64 exec, s[20:21]                                   // 0000000070FC: BEFE0114
	global_atomic_add_f32 v6, v117, s[8:9]                     // 000000007100: DD348000 00087506
	global_atomic_add_f32 v6, v121, s[8:9] offset:256          // 000000007108: DD348100 00087906
	s_mov_b64 exec, s[36:37]                                   // 000000007110: BEFE0124
	v_mov_b32_e32 v6, v54                                      // 000000007114: 7E0C0336
	s_mov_b64 s[60:61], 0                                      // 000000007118: BEBC0180
	v_readlane_b32 s82, v3, 4                                  // 00000000711C: D2890052 00010903
	s_and_b32 s82, s82, 0xffffff                               // 000000007124: 8652FF52 00FFFFFF
	s_cmp_lt_u32 s82, s66                                      // 00000000712C: BF0A4252
	s_cselect_b32 s20, s36, s60                                // 000000007130: 85143C24
	v_readlane_b32 s82, v3, 5                                  // 000000007134: D2890052 00010B03
	s_and_b32 s82, s82, 0xffffff                               // 00000000713C: 8652FF52 00FFFFFF
	s_cmp_lt_u32 s82, s66                                      // 000000007144: BF0A4252
	s_cselect_b32 s21, s36, s60                                // 000000007148: 85153C24
	s_mov_b64 exec, s[20:21]                                   // 00000000714C: BEFE0114
	global_atomic_add_f32 v6, v124, s[8:9]                     // 000000007150: DD348000 00087C06
	global_atomic_add_f32 v6, v128, s[8:9] offset:256          // 000000007158: DD348100 00088006
	s_mov_b64 exec, s[36:37]                                   // 000000007160: BEFE0124
	v_mov_b32_e32 v6, v55                                      // 000000007164: 7E0C0337
	s_mov_b64 s[60:61], 0                                      // 000000007168: BEBC0180
	v_readlane_b32 s82, v3, 6                                  // 00000000716C: D2890052 00010D03
	s_and_b32 s82, s82, 0xffffff                               // 000000007174: 8652FF52 00FFFFFF
	s_cmp_lt_u32 s82, s66                                      // 00000000717C: BF0A4252
	s_cselect_b32 s20, s36, s60                                // 000000007180: 85143C24
	v_readlane_b32 s82, v3, 7                                  // 000000007184: D2890052 00010F03
	s_and_b32 s82, s82, 0xffffff                               // 00000000718C: 8652FF52 00FFFFFF
	s_cmp_lt_u32 s82, s66                                      // 000000007194: BF0A4252
	s_cselect_b32 s21, s36, s60                                // 000000007198: 85153C24
	s_mov_b64 exec, s[20:21]                                   // 00000000719C: BEFE0114
	global_atomic_add_f32 v6, v125, s[8:9]                     // 0000000071A0: DD348000 00087D06
	global_atomic_add_f32 v6, v129, s[8:9] offset:256          // 0000000071A8: DD348100 00088106
	s_mov_b64 exec, s[36:37]                                   // 0000000071B0: BEFE0124
	v_mov_b32_e32 v6, v56                                      // 0000000071B4: 7E0C0338
	s_mov_b64 s[60:61], 0                                      // 0000000071B8: BEBC0180
	v_readlane_b32 s82, v3, 8                                  // 0000000071BC: D2890052 00011103
	s_and_b32 s82, s82, 0xffffff                               // 0000000071C4: 8652FF52 00FFFFFF
	s_cmp_lt_u32 s82, s66                                      // 0000000071CC: BF0A4252
	s_cselect_b32 s20, s36, s60                                // 0000000071D0: 85143C24
	v_readlane_b32 s82, v3, 9                                  // 0000000071D4: D2890052 00011303
	s_and_b32 s82, s82, 0xffffff                               // 0000000071DC: 8652FF52 00FFFFFF
	s_cmp_lt_u32 s82, s66                                      // 0000000071E4: BF0A4252
	s_cselect_b32 s21, s36, s60                                // 0000000071E8: 85153C24
	s_mov_b64 exec, s[20:21]                                   // 0000000071EC: BEFE0114
	global_atomic_add_f32 v6, v132, s[8:9]                     // 0000000071F0: DD348000 00088406
	global_atomic_add_f32 v6, v136, s[8:9] offset:256          // 0000000071F8: DD348100 00088806
	s_mov_b64 exec, s[36:37]                                   // 000000007200: BEFE0124
	v_mov_b32_e32 v6, v57                                      // 000000007204: 7E0C0339
	s_mov_b64 s[60:61], 0                                      // 000000007208: BEBC0180
	v_readlane_b32 s82, v3, 10                                 // 00000000720C: D2890052 00011503
	s_and_b32 s82, s82, 0xffffff                               // 000000007214: 8652FF52 00FFFFFF
	s_cmp_lt_u32 s82, s66                                      // 00000000721C: BF0A4252
	s_cselect_b32 s20, s36, s60                                // 000000007220: 85143C24
	v_readlane_b32 s82, v3, 11                                 // 000000007224: D2890052 00011703
	s_and_b32 s82, s82, 0xffffff                               // 00000000722C: 8652FF52 00FFFFFF
	s_cmp_lt_u32 s82, s66                                      // 000000007234: BF0A4252
	s_cselect_b32 s21, s36, s60                                // 000000007238: 85153C24
	s_mov_b64 exec, s[20:21]                                   // 00000000723C: BEFE0114
	global_atomic_add_f32 v6, v133, s[8:9]                     // 000000007240: DD348000 00088506
	global_atomic_add_f32 v6, v137, s[8:9] offset:256          // 000000007248: DD348100 00088906
	s_mov_b64 exec, s[36:37]                                   // 000000007250: BEFE0124
	v_mov_b32_e32 v6, v58                                      // 000000007254: 7E0C033A
	s_mov_b64 s[60:61], 0                                      // 000000007258: BEBC0180
	v_readlane_b32 s82, v3, 12                                 // 00000000725C: D2890052 00011903
	s_and_b32 s82, s82, 0xffffff                               // 000000007264: 8652FF52 00FFFFFF
	s_cmp_lt_u32 s82, s66                                      // 00000000726C: BF0A4252
	s_cselect_b32 s20, s36, s60                                // 000000007270: 85143C24
	v_readlane_b32 s82, v3, 13                                 // 000000007274: D2890052 00011B03
	s_and_b32 s82, s82, 0xffffff                               // 00000000727C: 8652FF52 00FFFFFF
	s_cmp_lt_u32 s82, s66                                      // 000000007284: BF0A4252
	s_cselect_b32 s21, s36, s60                                // 000000007288: 85153C24
	s_mov_b64 exec, s[20:21]                                   // 00000000728C: BEFE0114
	global_atomic_add_f32 v6, v140, s[8:9]                     // 000000007290: DD348000 00088C06
	global_atomic_add_f32 v6, v144, s[8:9] offset:256          // 000000007298: DD348100 00089006
	s_mov_b64 exec, s[36:37]                                   // 0000000072A0: BEFE0124
	v_mov_b32_e32 v6, v59                                      // 0000000072A4: 7E0C033B
	s_mov_b64 s[60:61], 0                                      // 0000000072A8: BEBC0180
	v_readlane_b32 s82, v3, 14                                 // 0000000072AC: D2890052 00011D03
	s_and_b32 s82, s82, 0xffffff                               // 0000000072B4: 8652FF52 00FFFFFF
	s_cmp_lt_u32 s82, s66                                      // 0000000072BC: BF0A4252
	s_cselect_b32 s20, s36, s60                                // 0000000072C0: 85143C24
	v_readlane_b32 s82, v3, 15                                 // 0000000072C4: D2890052 00011F03
	s_and_b32 s82, s82, 0xffffff                               // 0000000072CC: 8652FF52 00FFFFFF
	s_cmp_lt_u32 s82, s66                                      // 0000000072D4: BF0A4252
	s_cselect_b32 s21, s36, s60                                // 0000000072D8: 85153C24
	s_mov_b64 exec, s[20:21]                                   // 0000000072DC: BEFE0114
	global_atomic_add_f32 v6, v141, s[8:9]                     // 0000000072E0: DD348000 00088D06
	global_atomic_add_f32 v6, v145, s[8:9] offset:256          // 0000000072E8: DD348100 00089106
	s_mov_b64 exec, s[36:37]                                   // 0000000072F0: BEFE0124
	v_mov_b32_e32 v6, v60                                      // 0000000072F4: 7E0C033C
	s_mov_b64 s[60:61], 0                                      // 0000000072F8: BEBC0180
	v_readlane_b32 s82, v3, 16                                 // 0000000072FC: D2890052 00012103
	s_and_b32 s82, s82, 0xffffff                               // 000000007304: 8652FF52 00FFFFFF
	s_cmp_lt_u32 s82, s66                                      // 00000000730C: BF0A4252
	s_cselect_b32 s20, s36, s60                                // 000000007310: 85143C24
	v_readlane_b32 s82, v3, 17                                 // 000000007314: D2890052 00012303
	s_and_b32 s82, s82, 0xffffff                               // 00000000731C: 8652FF52 00FFFFFF
	s_cmp_lt_u32 s82, s66                                      // 000000007324: BF0A4252
	s_cselect_b32 s21, s36, s60                                // 000000007328: 85153C24
	s_mov_b64 exec, s[20:21]                                   // 00000000732C: BEFE0114
	global_atomic_add_f32 v6, v148, s[8:9]                     // 000000007330: DD348000 00089406
	global_atomic_add_f32 v6, v152, s[8:9] offset:256          // 000000007338: DD348100 00089806
	s_mov_b64 exec, s[36:37]                                   // 000000007340: BEFE0124
	v_mov_b32_e32 v6, v61                                      // 000000007344: 7E0C033D
	s_mov_b64 s[60:61], 0                                      // 000000007348: BEBC0180
	v_readlane_b32 s82, v3, 18                                 // 00000000734C: D2890052 00012503
	s_and_b32 s82, s82, 0xffffff                               // 000000007354: 8652FF52 00FFFFFF
	s_cmp_lt_u32 s82, s66                                      // 00000000735C: BF0A4252
	s_cselect_b32 s20, s36, s60                                // 000000007360: 85143C24
	v_readlane_b32 s82, v3, 19                                 // 000000007364: D2890052 00012703
	s_and_b32 s82, s82, 0xffffff                               // 00000000736C: 8652FF52 00FFFFFF
	s_cmp_lt_u32 s82, s66                                      // 000000007374: BF0A4252
	s_cselect_b32 s21, s36, s60                                // 000000007378: 85153C24
	s_mov_b64 exec, s[20:21]                                   // 00000000737C: BEFE0114
	global_atomic_add_f32 v6, v149, s[8:9]                     // 000000007380: DD348000 00089506
	global_atomic_add_f32 v6, v153, s[8:9] offset:256          // 000000007388: DD348100 00089906
	s_mov_b64 exec, s[36:37]                                   // 000000007390: BEFE0124
	v_mov_b32_e32 v6, v62                                      // 000000007394: 7E0C033E
	s_mov_b64 s[60:61], 0                                      // 000000007398: BEBC0180
	v_readlane_b32 s82, v3, 20                                 // 00000000739C: D2890052 00012903
	s_and_b32 s82, s82, 0xffffff                               // 0000000073A4: 8652FF52 00FFFFFF
	s_cmp_lt_u32 s82, s66                                      // 0000000073AC: BF0A4252
	s_cselect_b32 s20, s36, s60                                // 0000000073B0: 85143C24
	v_readlane_b32 s82, v3, 21                                 // 0000000073B4: D2890052 00012B03
	s_and_b32 s82, s82, 0xffffff                               // 0000000073BC: 8652FF52 00FFFFFF
	s_cmp_lt_u32 s82, s66                                      // 0000000073C4: BF0A4252
	s_cselect_b32 s21, s36, s60                                // 0000000073C8: 85153C24
	s_mov_b64 exec, s[20:21]                                   // 0000000073CC: BEFE0114
	global_atomic_add_f32 v6, v156, s[8:9]                     // 0000000073D0: DD348000 00089C06
	global_atomic_add_f32 v6, v160, s[8:9] offset:256          // 0000000073D8: DD348100 0008A006
	s_mov_b64 exec, s[36:37]                                   // 0000000073E0: BEFE0124
	v_mov_b32_e32 v6, v63                                      // 0000000073E4: 7E0C033F
	s_mov_b64 s[60:61], 0                                      // 0000000073E8: BEBC0180
	v_readlane_b32 s82, v3, 22                                 // 0000000073EC: D2890052 00012D03
	s_and_b32 s82, s82, 0xffffff                               // 0000000073F4: 8652FF52 00FFFFFF
	s_cmp_lt_u32 s82, s66                                      // 0000000073FC: BF0A4252
	s_cselect_b32 s20, s36, s60                                // 000000007400: 85143C24
	v_readlane_b32 s82, v3, 23                                 // 000000007404: D2890052 00012F03
	s_and_b32 s82, s82, 0xffffff                               // 00000000740C: 8652FF52 00FFFFFF
	s_cmp_lt_u32 s82, s66                                      // 000000007414: BF0A4252
	s_cselect_b32 s21, s36, s60                                // 000000007418: 85153C24
	s_mov_b64 exec, s[20:21]                                   // 00000000741C: BEFE0114
	global_atomic_add_f32 v6, v157, s[8:9]                     // 000000007420: DD348000 00089D06
	global_atomic_add_f32 v6, v161, s[8:9] offset:256          // 000000007428: DD348100 0008A106
	s_mov_b64 exec, s[36:37]                                   // 000000007430: BEFE0124
	ds_write_b64 v20, v[118:119]                               // 000000007434: D89A0000 00007614
	ds_write_b64 v20, v[122:123] offset:4352                   // 00000000743C: D89A1100 00007A14
	ds_write_b64 v20, v[126:127] offset:8704                   // 000000007444: D89A2200 00007E14
	ds_write_b64 v20, v[130:131] offset:13056                  // 00000000744C: D89A3300 00008214
	ds_write_b64 v20, v[134:135] offset:17408                  // 000000007454: D89A4400 00008614
	ds_write_b64 v20, v[138:139] offset:21760                  // 00000000745C: D89A5500 00008A14
	ds_write_b64 v20, v[142:143] offset:2176                   // 000000007464: D89A0880 00008E14
	ds_write_b64 v20, v[146:147] offset:6528                   // 00000000746C: D89A1980 00009214
	ds_write_b64 v20, v[150:151] offset:10880                  // 000000007474: D89A2A80 00009614
	ds_write_b64 v20, v[154:155] offset:15232                  // 00000000747C: D89A3B80 00009A14
	ds_write_b64 v20, v[158:159] offset:19584                  // 000000007484: D89A4C80 00009E14
	ds_write_b64 v20, v[162:163] offset:23936                  // 00000000748C: D89A5D80 0000A214
	s_waitcnt lgkmcnt(0)                                       // 000000007494: BF8CC07F
	s_barrier                                                  // 000000007498: BF8A0000
	ds_read_b32 v118, v21                                      // 00000000749C: D86C0000 76000015
	ds_read_b32 v119, v21 offset:64                            // 0000000074A4: D86C0040 77000015
	ds_read_b32 v122, v21 offset:2176                          // 0000000074AC: D86C0880 7A000015
	ds_read_b32 v123, v21 offset:2240                          // 0000000074B4: D86C08C0 7B000015
	ds_read_b32 v126, v21 offset:4352                          // 0000000074BC: D86C1100 7E000015
	ds_read_b32 v127, v21 offset:4416                          // 0000000074C4: D86C1140 7F000015
	ds_read_b32 v130, v21 offset:6528                          // 0000000074CC: D86C1980 82000015
	ds_read_b32 v131, v21 offset:6592                          // 0000000074D4: D86C19C0 83000015
	ds_read_b32 v134, v21 offset:8704                          // 0000000074DC: D86C2200 86000015
	ds_read_b32 v135, v21 offset:8768                          // 0000000074E4: D86C2240 87000015
	ds_read_b32 v138, v21 offset:10880                         // 0000000074EC: D86C2A80 8A000015
	ds_read_b32 v139, v21 offset:10944                         // 0000000074F4: D86C2AC0 8B000015
	ds_read_b32 v142, v21 offset:13056                         // 0000000074FC: D86C3300 8E000015
	ds_read_b32 v143, v21 offset:13120                         // 000000007504: D86C3340 8F000015
	ds_read_b32 v146, v21 offset:15232                         // 00000000750C: D86C3B80 92000015
	ds_read_b32 v147, v21 offset:15296                         // 000000007514: D86C3BC0 93000015
	ds_read_b32 v150, v21 offset:17408                         // 00000000751C: D86C4400 96000015
	ds_read_b32 v151, v21 offset:17472                         // 000000007524: D86C4440 97000015
	ds_read_b32 v154, v21 offset:19584                         // 00000000752C: D86C4C80 9A000015
	ds_read_b32 v155, v21 offset:19648                         // 000000007534: D86C4CC0 9B000015
	ds_read_b32 v158, v21 offset:21760                         // 00000000753C: D86C5500 9E000015
	ds_read_b32 v159, v21 offset:21824                         // 000000007544: D86C5540 9F000015
	ds_read_b32 v162, v21 offset:23936                         // 00000000754C: D86C5D80 A2000015
	ds_read_b32 v163, v21 offset:24000                         // 000000007554: D86C5DC0 A3000015
	s_waitcnt lgkmcnt(0)                                       // 00000000755C: BF8CC07F
	v_mov_b32_e32 v7, 0                                        // 000000007560: 7E0E0280
	s_mov_b64 exec, s[36:37]                                   // 000000007564: BEFE0124
	v_mov_b32_e32 v6, v52                                      // 000000007568: 7E0C0334
	s_mov_b64 s[60:61], 0                                      // 00000000756C: BEBC0180
	v_readlane_b32 s82, v3, 0                                  // 000000007570: D2890052 00010103
	s_and_b32 s82, s82, 0xffffff                               // 000000007578: 8652FF52 00FFFFFF
	s_cmp_lt_u32 s82, s66                                      // 000000007580: BF0A4252
	s_cselect_b32 s20, s36, s60                                // 000000007584: 85143C24
	v_readlane_b32 s82, v3, 1                                  // 000000007588: D2890052 00010303
	s_and_b32 s82, s82, 0xffffff                               // 000000007590: 8652FF52 00FFFFFF
	s_cmp_lt_u32 s82, s66                                      // 000000007598: BF0A4252
	s_cselect_b32 s21, s36, s60                                // 00000000759C: 85153C24
	s_mov_b64 exec, s[20:21]                                   // 0000000075A0: BEFE0114
	global_atomic_add_f32 v6, v118, s[8:9] offset:8            // 0000000075A4: DD348008 00087606
	global_atomic_add_f32 v6, v122, s[8:9] offset:264          // 0000000075AC: DD348108 00087A06
	s_mov_b64 exec, s[36:37]                                   // 0000000075B4: BEFE0124
	v_mov_b32_e32 v6, v53                                      // 0000000075B8: 7E0C0335
	s_mov_b64 s[60:61], 0                                      // 0000000075BC: BEBC0180
	v_readlane_b32 s82, v3, 2                                  // 0000000075C0: D2890052 00010503
	s_and_b32 s82, s82, 0xffffff                               // 0000000075C8: 8652FF52 00FFFFFF
	s_cmp_lt_u32 s82, s66                                      // 0000000075D0: BF0A4252
	s_cselect_b32 s20, s36, s60                                // 0000000075D4: 85143C24
	v_readlane_b32 s82, v3, 3                                  // 0000000075D8: D2890052 00010703
	s_and_b32 s82, s82, 0xffffff                               // 0000000075E0: 8652FF52 00FFFFFF
	s_cmp_lt_u32 s82, s66                                      // 0000000075E8: BF0A4252
	s_cselect_b32 s21, s36, s60                                // 0000000075EC: 85153C24
	s_mov_b64 exec, s[20:21]                                   // 0000000075F0: BEFE0114
	global_atomic_add_f32 v6, v119, s[8:9] offset:8            // 0000000075F4: DD348008 00087706
	global_atomic_add_f32 v6, v123, s[8:9] offset:264          // 0000000075FC: DD348108 00087B06
	s_mov_b64 exec, s[36:37]                                   // 000000007604: BEFE0124
	v_mov_b32_e32 v6, v54                                      // 000000007608: 7E0C0336
	s_mov_b64 s[60:61], 0                                      // 00000000760C: BEBC0180
	v_readlane_b32 s82, v3, 4                                  // 000000007610: D2890052 00010903
	s_and_b32 s82, s82, 0xffffff                               // 000000007618: 8652FF52 00FFFFFF
	s_cmp_lt_u32 s82, s66                                      // 000000007620: BF0A4252
	s_cselect_b32 s20, s36, s60                                // 000000007624: 85143C24
	v_readlane_b32 s82, v3, 5                                  // 000000007628: D2890052 00010B03
	s_and_b32 s82, s82, 0xffffff                               // 000000007630: 8652FF52 00FFFFFF
	s_cmp_lt_u32 s82, s66                                      // 000000007638: BF0A4252
	s_cselect_b32 s21, s36, s60                                // 00000000763C: 85153C24
	s_mov_b64 exec, s[20:21]                                   // 000000007640: BEFE0114
	global_atomic_add_f32 v6, v126, s[8:9] offset:8            // 000000007644: DD348008 00087E06
	global_atomic_add_f32 v6, v130, s[8:9] offset:264          // 00000000764C: DD348108 00088206
	s_mov_b64 exec, s[36:37]                                   // 000000007654: BEFE0124
	v_mov_b32_e32 v6, v55                                      // 000000007658: 7E0C0337
	s_mov_b64 s[60:61], 0                                      // 00000000765C: BEBC0180
	v_readlane_b32 s82, v3, 6                                  // 000000007660: D2890052 00010D03
	s_and_b32 s82, s82, 0xffffff                               // 000000007668: 8652FF52 00FFFFFF
	s_cmp_lt_u32 s82, s66                                      // 000000007670: BF0A4252
	s_cselect_b32 s20, s36, s60                                // 000000007674: 85143C24
	v_readlane_b32 s82, v3, 7                                  // 000000007678: D2890052 00010F03
	s_and_b32 s82, s82, 0xffffff                               // 000000007680: 8652FF52 00FFFFFF
	s_cmp_lt_u32 s82, s66                                      // 000000007688: BF0A4252
	s_cselect_b32 s21, s36, s60                                // 00000000768C: 85153C24
	s_mov_b64 exec, s[20:21]                                   // 000000007690: BEFE0114
	global_atomic_add_f32 v6, v127, s[8:9] offset:8            // 000000007694: DD348008 00087F06
	global_atomic_add_f32 v6, v131, s[8:9] offset:264          // 00000000769C: DD348108 00088306
	s_mov_b64 exec, s[36:37]                                   // 0000000076A4: BEFE0124
	v_mov_b32_e32 v6, v56                                      // 0000000076A8: 7E0C0338
	s_mov_b64 s[60:61], 0                                      // 0000000076AC: BEBC0180
	v_readlane_b32 s82, v3, 8                                  // 0000000076B0: D2890052 00011103
	s_and_b32 s82, s82, 0xffffff                               // 0000000076B8: 8652FF52 00FFFFFF
	s_cmp_lt_u32 s82, s66                                      // 0000000076C0: BF0A4252
	s_cselect_b32 s20, s36, s60                                // 0000000076C4: 85143C24
	v_readlane_b32 s82, v3, 9                                  // 0000000076C8: D2890052 00011303
	s_and_b32 s82, s82, 0xffffff                               // 0000000076D0: 8652FF52 00FFFFFF
	s_cmp_lt_u32 s82, s66                                      // 0000000076D8: BF0A4252
	s_cselect_b32 s21, s36, s60                                // 0000000076DC: 85153C24
	s_mov_b64 exec, s[20:21]                                   // 0000000076E0: BEFE0114
	global_atomic_add_f32 v6, v134, s[8:9] offset:8            // 0000000076E4: DD348008 00088606
	global_atomic_add_f32 v6, v138, s[8:9] offset:264          // 0000000076EC: DD348108 00088A06
	s_mov_b64 exec, s[36:37]                                   // 0000000076F4: BEFE0124
	v_mov_b32_e32 v6, v57                                      // 0000000076F8: 7E0C0339
	s_mov_b64 s[60:61], 0                                      // 0000000076FC: BEBC0180
	v_readlane_b32 s82, v3, 10                                 // 000000007700: D2890052 00011503
	s_and_b32 s82, s82, 0xffffff                               // 000000007708: 8652FF52 00FFFFFF
	s_cmp_lt_u32 s82, s66                                      // 000000007710: BF0A4252
	s_cselect_b32 s20, s36, s60                                // 000000007714: 85143C24
	v_readlane_b32 s82, v3, 11                                 // 000000007718: D2890052 00011703
	s_and_b32 s82, s82, 0xffffff                               // 000000007720: 8652FF52 00FFFFFF
	s_cmp_lt_u32 s82, s66                                      // 000000007728: BF0A4252
	s_cselect_b32 s21, s36, s60                                // 00000000772C: 85153C24
	s_mov_b64 exec, s[20:21]                                   // 000000007730: BEFE0114
	global_atomic_add_f32 v6, v135, s[8:9] offset:8            // 000000007734: DD348008 00088706
	global_atomic_add_f32 v6, v139, s[8:9] offset:264          // 00000000773C: DD348108 00088B06
	s_mov_b64 exec, s[36:37]                                   // 000000007744: BEFE0124
	v_mov_b32_e32 v6, v58                                      // 000000007748: 7E0C033A
	s_mov_b64 s[60:61], 0                                      // 00000000774C: BEBC0180
	v_readlane_b32 s82, v3, 12                                 // 000000007750: D2890052 00011903
	s_and_b32 s82, s82, 0xffffff                               // 000000007758: 8652FF52 00FFFFFF
	s_cmp_lt_u32 s82, s66                                      // 000000007760: BF0A4252
	s_cselect_b32 s20, s36, s60                                // 000000007764: 85143C24
	v_readlane_b32 s82, v3, 13                                 // 000000007768: D2890052 00011B03
	s_and_b32 s82, s82, 0xffffff                               // 000000007770: 8652FF52 00FFFFFF
	s_cmp_lt_u32 s82, s66                                      // 000000007778: BF0A4252
	s_cselect_b32 s21, s36, s60                                // 00000000777C: 85153C24
	s_mov_b64 exec, s[20:21]                                   // 000000007780: BEFE0114
	global_atomic_add_f32 v6, v142, s[8:9] offset:8            // 000000007784: DD348008 00088E06
	global_atomic_add_f32 v6, v146, s[8:9] offset:264          // 00000000778C: DD348108 00089206
	s_mov_b64 exec, s[36:37]                                   // 000000007794: BEFE0124
	v_mov_b32_e32 v6, v59                                      // 000000007798: 7E0C033B
	s_mov_b64 s[60:61], 0                                      // 00000000779C: BEBC0180
	v_readlane_b32 s82, v3, 14                                 // 0000000077A0: D2890052 00011D03
	s_and_b32 s82, s82, 0xffffff                               // 0000000077A8: 8652FF52 00FFFFFF
	s_cmp_lt_u32 s82, s66                                      // 0000000077B0: BF0A4252
	s_cselect_b32 s20, s36, s60                                // 0000000077B4: 85143C24
	v_readlane_b32 s82, v3, 15                                 // 0000000077B8: D2890052 00011F03
	s_and_b32 s82, s82, 0xffffff                               // 0000000077C0: 8652FF52 00FFFFFF
	s_cmp_lt_u32 s82, s66                                      // 0000000077C8: BF0A4252
	s_cselect_b32 s21, s36, s60                                // 0000000077CC: 85153C24
	s_mov_b64 exec, s[20:21]                                   // 0000000077D0: BEFE0114
	global_atomic_add_f32 v6, v143, s[8:9] offset:8            // 0000000077D4: DD348008 00088F06
	global_atomic_add_f32 v6, v147, s[8:9] offset:264          // 0000000077DC: DD348108 00089306
	s_mov_b64 exec, s[36:37]                                   // 0000000077E4: BEFE0124
	v_mov_b32_e32 v6, v60                                      // 0000000077E8: 7E0C033C
	s_mov_b64 s[60:61], 0                                      // 0000000077EC: BEBC0180
	v_readlane_b32 s82, v3, 16                                 // 0000000077F0: D2890052 00012103
	s_and_b32 s82, s82, 0xffffff                               // 0000000077F8: 8652FF52 00FFFFFF
	s_cmp_lt_u32 s82, s66                                      // 000000007800: BF0A4252
	s_cselect_b32 s20, s36, s60                                // 000000007804: 85143C24
	v_readlane_b32 s82, v3, 17                                 // 000000007808: D2890052 00012303
	s_and_b32 s82, s82, 0xffffff                               // 000000007810: 8652FF52 00FFFFFF
	s_cmp_lt_u32 s82, s66                                      // 000000007818: BF0A4252
	s_cselect_b32 s21, s36, s60                                // 00000000781C: 85153C24
	s_mov_b64 exec, s[20:21]                                   // 000000007820: BEFE0114
	global_atomic_add_f32 v6, v150, s[8:9] offset:8            // 000000007824: DD348008 00089606
	global_atomic_add_f32 v6, v154, s[8:9] offset:264          // 00000000782C: DD348108 00089A06
	s_mov_b64 exec, s[36:37]                                   // 000000007834: BEFE0124
	v_mov_b32_e32 v6, v61                                      // 000000007838: 7E0C033D
	s_mov_b64 s[60:61], 0                                      // 00000000783C: BEBC0180
	v_readlane_b32 s82, v3, 18                                 // 000000007840: D2890052 00012503
	s_and_b32 s82, s82, 0xffffff                               // 000000007848: 8652FF52 00FFFFFF
	s_cmp_lt_u32 s82, s66                                      // 000000007850: BF0A4252
	s_cselect_b32 s20, s36, s60                                // 000000007854: 85143C24
	v_readlane_b32 s82, v3, 19                                 // 000000007858: D2890052 00012703
	s_and_b32 s82, s82, 0xffffff                               // 000000007860: 8652FF52 00FFFFFF
	s_cmp_lt_u32 s82, s66                                      // 000000007868: BF0A4252
	s_cselect_b32 s21, s36, s60                                // 00000000786C: 85153C24
	s_mov_b64 exec, s[20:21]                                   // 000000007870: BEFE0114
	global_atomic_add_f32 v6, v151, s[8:9] offset:8            // 000000007874: DD348008 00089706
	global_atomic_add_f32 v6, v155, s[8:9] offset:264          // 00000000787C: DD348108 00089B06
	s_mov_b64 exec, s[36:37]                                   // 000000007884: BEFE0124
	v_mov_b32_e32 v6, v62                                      // 000000007888: 7E0C033E
	s_mov_b64 s[60:61], 0                                      // 00000000788C: BEBC0180
	v_readlane_b32 s82, v3, 20                                 // 000000007890: D2890052 00012903
	s_and_b32 s82, s82, 0xffffff                               // 000000007898: 8652FF52 00FFFFFF
	s_cmp_lt_u32 s82, s66                                      // 0000000078A0: BF0A4252
	s_cselect_b32 s20, s36, s60                                // 0000000078A4: 85143C24
	v_readlane_b32 s82, v3, 21                                 // 0000000078A8: D2890052 00012B03
	s_and_b32 s82, s82, 0xffffff                               // 0000000078B0: 8652FF52 00FFFFFF
	s_cmp_lt_u32 s82, s66                                      // 0000000078B8: BF0A4252
	s_cselect_b32 s21, s36, s60                                // 0000000078BC: 85153C24
	s_mov_b64 exec, s[20:21]                                   // 0000000078C0: BEFE0114
	global_atomic_add_f32 v6, v158, s[8:9] offset:8            // 0000000078C4: DD348008 00089E06
	global_atomic_add_f32 v6, v162, s[8:9] offset:264          // 0000000078CC: DD348108 0008A206
	s_mov_b64 exec, s[36:37]                                   // 0000000078D4: BEFE0124
	v_mov_b32_e32 v6, v63                                      // 0000000078D8: 7E0C033F
	s_mov_b64 s[60:61], 0                                      // 0000000078DC: BEBC0180
	v_readlane_b32 s82, v3, 22                                 // 0000000078E0: D2890052 00012D03
	s_and_b32 s82, s82, 0xffffff                               // 0000000078E8: 8652FF52 00FFFFFF
	s_cmp_lt_u32 s82, s66                                      // 0000000078F0: BF0A4252
	s_cselect_b32 s20, s36, s60                                // 0000000078F4: 85143C24
	v_readlane_b32 s82, v3, 23                                 // 0000000078F8: D2890052 00012F03
	s_and_b32 s82, s82, 0xffffff                               // 000000007900: 8652FF52 00FFFFFF
	s_cmp_lt_u32 s82, s66                                      // 000000007908: BF0A4252
	s_cselect_b32 s21, s36, s60                                // 00000000790C: 85153C24
	s_mov_b64 exec, s[20:21]                                   // 000000007910: BEFE0114
	global_atomic_add_f32 v6, v159, s[8:9] offset:8            // 000000007914: DD348008 00089F06
	global_atomic_add_f32 v6, v163, s[8:9] offset:264          // 00000000791C: DD348108 0008A306
	s_mov_b64 exec, s[36:37]                                   // 000000007924: BEFE0124
	s_branch label_2486                                        // 000000007928: BF8210B8

000000000000792c <label_13CE>:
	s_waitcnt vmcnt(2) lgkmcnt(0)                              // 00000000792C: BF8C0072
	s_barrier                                                  // 000000007930: BF8A0000
	v_mfma_f32_16x16x32_fp8_fp8 v[68:71], a[96:97], a[0:1], v[68:71]// 000000007934: D3F30044 1D120160
	buffer_load_dwordx4 a[112:115], v64, s[84:87], 0 offen     // 00000000793C: E05C1000 80957040
	v_mfma_f32_16x16x32_fp8_fp8 v[68:71], a[98:99], a[2:3], v[68:71]// 000000007944: D3F30044 1D120562
	v_mfma_f32_16x16x32_fp8_fp8 v[68:71], a[100:101], a[4:5], v[68:71]// 00000000794C: D3F30044 1D120964
	v_mfma_f32_16x16x32_fp8_fp8 v[68:71], a[102:103], a[6:7], v[68:71]// 000000007954: D3F30044 1D120D66
	v_mfma_f32_16x16x32_fp8_fp8 v[72:75], a[96:97], a[8:9], v[72:75]// 00000000795C: D3F30048 1D221160
	buffer_load_dwordx4 a[116:119], v64, s[84:87], 0 offen offset:1024// 000000007964: E05C1400 80957440
	v_mfma_f32_16x16x32_fp8_fp8 v[72:75], a[98:99], a[10:11], v[72:75]// 00000000796C: D3F30048 1D221562
	v_mfma_f32_16x16x32_fp8_fp8 v[72:75], a[100:101], a[12:13], v[72:75]// 000000007974: D3F30048 1D221964
	v_mfma_f32_16x16x32_fp8_fp8 v[72:75], a[102:103], a[14:15], v[72:75]// 00000000797C: D3F30048 1D221D66
	v_mfma_f32_16x16x32_fp8_fp8 v[76:79], a[96:97], a[16:17], v[76:79]// 000000007984: D3F3004C 1D322160
	buffer_load_dwordx4 a[120:123], v65, s[84:87], 0 offen     // 00000000798C: E05C1000 80957841
	v_mfma_f32_16x16x32_fp8_fp8 v[76:79], a[98:99], a[18:19], v[76:79]// 000000007994: D3F3004C 1D322562
	v_mfma_f32_16x16x32_fp8_fp8 v[76:79], a[100:101], a[20:21], v[76:79]// 00000000799C: D3F3004C 1D322964
	v_mfma_f32_16x16x32_fp8_fp8 v[76:79], a[102:103], a[22:23], v[76:79]// 0000000079A4: D3F3004C 1D322D66
	v_mfma_f32_16x16x32_fp8_fp8 v[80:83], a[96:97], a[24:25], v[80:83]// 0000000079AC: D3F30050 1D423160
	buffer_load_dwordx4 a[124:127], v65, s[84:87], 0 offen offset:1024// 0000000079B4: E05C1400 80957C41
	buffer_load_dword v52, s[20:23], 0 offen lds               // 0000000079BC: E0511000 80050034
	s_add_u32 m0, 0x100, s48                                   // 0000000079C4: 807C30FF 00000100
	v_mfma_f32_16x16x32_fp8_fp8 v[80:83], a[98:99], a[26:27], v[80:83]// 0000000079CC: D3F30050 1D423562
	v_mfma_f32_16x16x32_fp8_fp8 v[80:83], a[100:101], a[28:29], v[80:83]// 0000000079D4: D3F30050 1D423964
	buffer_load_dword v53, s[20:23], 0 offen lds               // 0000000079DC: E0511000 80050035
	s_add_u32 m0, 0x200, s48                                   // 0000000079E4: 807C30FF 00000200
	v_mfma_f32_16x16x32_fp8_fp8 v[80:83], a[102:103], a[30:31], v[80:83]// 0000000079EC: D3F30050 1D423D66
	v_mfma_f32_16x16x32_fp8_fp8 v[84:87], a[96:97], a[32:33], v[84:87]// 0000000079F4: D3F30054 1D524160
	buffer_load_dword v54, s[20:23], 0 offen lds               // 0000000079FC: E0511000 80050036
	s_add_u32 m0, 0x300, s48                                   // 000000007A04: 807C30FF 00000300
	v_mfma_f32_16x16x32_fp8_fp8 v[84:87], a[98:99], a[34:35], v[84:87]// 000000007A0C: D3F30054 1D524562
	v_mfma_f32_16x16x32_fp8_fp8 v[84:87], a[100:101], a[36:37], v[84:87]// 000000007A14: D3F30054 1D524964
	buffer_load_dword v55, s[20:23], 0 offen lds               // 000000007A1C: E0511000 80050037
	s_add_u32 m0, 0x400, s48                                   // 000000007A24: 807C30FF 00000400
	v_mfma_f32_16x16x32_fp8_fp8 v[84:87], a[102:103], a[38:39], v[84:87]// 000000007A2C: D3F30054 1D524D66
	v_mfma_f32_16x16x32_fp8_fp8 v[88:91], a[96:97], a[40:41], v[88:91]// 000000007A34: D3F30058 1D625160
	buffer_load_dword v56, s[20:23], 0 offen lds               // 000000007A3C: E0511000 80050038
	s_add_u32 m0, 0x500, s48                                   // 000000007A44: 807C30FF 00000500
	v_mfma_f32_16x16x32_fp8_fp8 v[88:91], a[98:99], a[42:43], v[88:91]// 000000007A4C: D3F30058 1D625562
	v_mfma_f32_16x16x32_fp8_fp8 v[88:91], a[100:101], a[44:45], v[88:91]// 000000007A54: D3F30058 1D625964
	buffer_load_dword v57, s[20:23], 0 offen lds               // 000000007A5C: E0511000 80050039
	s_add_u32 m0, 0x600, s48                                   // 000000007A64: 807C30FF 00000600
	v_mfma_f32_16x16x32_fp8_fp8 v[88:91], a[102:103], a[46:47], v[88:91]// 000000007A6C: D3F30058 1D625D66
	s_waitcnt vmcnt(10)                                        // 000000007A74: BF8C0F7A
	v_mfma_f32_16x16x32_fp8_fp8 v[92:95], a[104:105], a[0:1], v[92:95]// 000000007A78: D3F3005C 1D720168
	buffer_load_dword v58, s[20:23], 0 offen lds               // 000000007A80: E0511000 8005003A
	s_add_u32 m0, 0x700, s48                                   // 000000007A88: 807C30FF 00000700
	v_mfma_f32_16x16x32_fp8_fp8 v[92:95], a[106:107], a[2:3], v[92:95]// 000000007A90: D3F3005C 1D72056A
	v_mfma_f32_16x16x32_fp8_fp8 v[92:95], a[108:109], a[4:5], v[92:95]// 000000007A98: D3F3005C 1D72096C
	buffer_load_dword v59, s[20:23], 0 offen lds               // 000000007AA0: E0511000 8005003B
	s_add_u32 m0, 0x800, s48                                   // 000000007AA8: 807C30FF 00000800
	v_mfma_f32_16x16x32_fp8_fp8 v[92:95], a[110:111], a[6:7], v[92:95]// 000000007AB0: D3F3005C 1D720D6E
	v_mfma_f32_16x16x32_fp8_fp8 v[96:99], a[104:105], a[8:9], v[96:99]// 000000007AB8: D3F30060 1D821168
	buffer_load_dword v60, s[20:23], 0 offen lds               // 000000007AC0: E0511000 8005003C
	s_add_u32 m0, 0x900, s48                                   // 000000007AC8: 807C30FF 00000900
	v_mfma_f32_16x16x32_fp8_fp8 v[96:99], a[106:107], a[10:11], v[96:99]// 000000007AD0: D3F30060 1D82156A
	v_mfma_f32_16x16x32_fp8_fp8 v[96:99], a[108:109], a[12:13], v[96:99]// 000000007AD8: D3F30060 1D82196C
	buffer_load_dword v61, s[20:23], 0 offen lds               // 000000007AE0: E0511000 8005003D
	s_add_u32 m0, 0xa00, s48                                   // 000000007AE8: 807C30FF 00000A00
	v_mfma_f32_16x16x32_fp8_fp8 v[96:99], a[110:111], a[14:15], v[96:99]// 000000007AF0: D3F30060 1D821D6E
	v_mfma_f32_16x16x32_fp8_fp8 v[100:103], a[104:105], a[16:17], v[100:103]// 000000007AF8: D3F30064 1D922168
	buffer_load_dword v62, s[20:23], 0 offen lds               // 000000007B00: E0511000 8005003E
	s_add_u32 m0, 0xb00, s48                                   // 000000007B08: 807C30FF 00000B00
	v_mfma_f32_16x16x32_fp8_fp8 v[100:103], a[106:107], a[18:19], v[100:103]// 000000007B10: D3F30064 1D92256A
	v_mfma_f32_16x16x32_fp8_fp8 v[100:103], a[108:109], a[20:21], v[100:103]// 000000007B18: D3F30064 1D92296C
	buffer_load_dword v63, s[20:23], 0 offen lds               // 000000007B20: E0511000 8005003F
	s_add_u32 m0, 0, s49                                       // 000000007B28: 807C3180
	v_mfma_f32_16x16x32_fp8_fp8 v[100:103], a[110:111], a[22:23], v[100:103]// 000000007B2C: D3F30064 1D922D6E
	v_mfma_f32_16x16x32_fp8_fp8 v[104:107], a[104:105], a[24:25], v[104:107]// 000000007B34: D3F30068 1DA23168
	v_mfma_f32_16x16x32_fp8_fp8 v[104:107], a[106:107], a[26:27], v[104:107]// 000000007B3C: D3F30068 1DA2356A
	v_mfma_f32_16x16x32_fp8_fp8 v[104:107], a[108:109], a[28:29], v[104:107]// 000000007B44: D3F30068 1DA2396C
	v_mfma_f32_16x16x32_fp8_fp8 v[104:107], a[110:111], a[30:31], v[104:107]// 000000007B4C: D3F30068 1DA23D6E
	v_mfma_f32_16x16x32_fp8_fp8 v[108:111], a[104:105], a[32:33], v[108:111]// 000000007B54: D3F3006C 1DB24168
	v_mfma_f32_16x16x32_fp8_fp8 v[108:111], a[106:107], a[34:35], v[108:111]// 000000007B5C: D3F3006C 1DB2456A
	v_mfma_f32_16x16x32_fp8_fp8 v[108:111], a[108:109], a[36:37], v[108:111]// 000000007B64: D3F3006C 1DB2496C
	v_mfma_f32_16x16x32_fp8_fp8 v[108:111], a[110:111], a[38:39], v[108:111]// 000000007B6C: D3F3006C 1DB24D6E
	v_mfma_f32_16x16x32_fp8_fp8 v[112:115], a[104:105], a[40:41], v[112:115]// 000000007B74: D3F30070 1DC25168
	v_mfma_f32_16x16x32_fp8_fp8 v[112:115], a[106:107], a[42:43], v[112:115]// 000000007B7C: D3F30070 1DC2556A
	s_add_u32 s60, 0x80, s80                                   // 000000007B84: 803C50FF 00000080
	s_cmp_lt_u32 s60, s81                                      // 000000007B8C: BF0A513C
	s_cselect_b32 s83, s83, 0                                  // 000000007B90: 85538053
	v_mfma_f32_16x16x32_fp8_fp8 v[112:115], a[108:109], a[44:45], v[112:115]// 000000007B94: D3F30070 1DC2596C
	v_mfma_f32_16x16x32_fp8_fp8 v[112:115], a[110:111], a[46:47], v[112:115]// 000000007B9C: D3F30070 1DC25D6E
	s_waitcnt vmcnt(12)                                        // 000000007BA4: BF8C0F7C
	v_mfma_f32_16x16x32_fp8_fp8 v[116:119], a[112:113], a[0:1], v[116:119]// 000000007BA8: D3F30074 1DD20170
	buffer_load_dwordx4 a[96:99], v64, s[24:27], 0 offen       // 000000007BB0: E05C1000 80866040
	v_mfma_f32_16x16x32_fp8_fp8 v[116:119], a[114:115], a[2:3], v[116:119]// 000000007BB8: D3F30074 1DD20572
	v_mfma_f32_16x16x32_fp8_fp8 v[116:119], a[116:117], a[4:5], v[116:119]// 000000007BC0: D3F30074 1DD20974
	ds_read_b128 a[48:51], v2 offset:12416                     // 000000007BC8: DBFE3080 30000002
	ds_read_b128 a[52:55], v2 offset:12480                     // 000000007BD0: DBFE30C0 34000002
	v_mfma_f32_16x16x32_fp8_fp8 v[116:119], a[118:119], a[6:7], v[116:119]// 000000007BD8: D3F30074 1DD20D76
	v_mfma_f32_16x16x32_fp8_fp8 v[140:143], a[120:121], a[0:1], v[140:143]// 000000007BE0: D3F3008C 1E320178
	buffer_load_dwordx4 a[100:103], v64, s[24:27], 0 offen offset:1024// 000000007BE8: E05C1400 80866440
	v_mfma_f32_16x16x32_fp8_fp8 v[140:143], a[122:123], a[2:3], v[140:143]// 000000007BF0: D3F3008C 1E32057A
	v_mfma_f32_16x16x32_fp8_fp8 v[140:143], a[124:125], a[4:5], v[140:143]// 000000007BF8: D3F3008C 1E32097C
	ds_read_b128 a[56:59], v2 offset:12928                     // 000000007C00: DBFE3280 38000002
	ds_read_b128 a[60:63], v2 offset:12992                     // 000000007C08: DBFE32C0 3C000002
	v_mfma_f32_16x16x32_fp8_fp8 v[140:143], a[126:127], a[6:7], v[140:143]// 000000007C10: D3F3008C 1E320D7E
	v_mfma_f32_16x16x32_fp8_fp8 v[120:123], a[112:113], a[8:9], v[120:123]// 000000007C18: D3F30078 1DE21170
	buffer_load_dwordx4 a[104:107], v65, s[24:27], 0 offen     // 000000007C20: E05C1000 80866841
	v_mfma_f32_16x16x32_fp8_fp8 v[120:123], a[114:115], a[10:11], v[120:123]// 000000007C28: D3F30078 1DE21572
	v_mfma_f32_16x16x32_fp8_fp8 v[120:123], a[116:117], a[12:13], v[120:123]// 000000007C30: D3F30078 1DE21974
	ds_read_b128 a[64:67], v2 offset:13440                     // 000000007C38: DBFE3480 40000002
	ds_read_b128 a[68:71], v2 offset:13504                     // 000000007C40: DBFE34C0 44000002
	v_mfma_f32_16x16x32_fp8_fp8 v[120:123], a[118:119], a[14:15], v[120:123]// 000000007C48: D3F30078 1DE21D76
	v_mfma_f32_16x16x32_fp8_fp8 v[144:147], a[120:121], a[8:9], v[144:147]// 000000007C50: D3F30090 1E421178
	buffer_load_dwordx4 a[108:111], v65, s[24:27], 0 offen offset:1024// 000000007C58: E05C1400 80866C41
	v_mfma_f32_16x16x32_fp8_fp8 v[144:147], a[122:123], a[10:11], v[144:147]// 000000007C60: D3F30090 1E42157A
	v_mfma_f32_16x16x32_fp8_fp8 v[144:147], a[124:125], a[12:13], v[144:147]// 000000007C68: D3F30090 1E42197C
	ds_read_b128 a[72:75], v2 offset:13952                     // 000000007C70: DBFE3680 48000002
	ds_read_b128 a[76:79], v2 offset:14016                     // 000000007C78: DBFE36C0 4C000002
	v_mfma_f32_16x16x32_fp8_fp8 v[144:147], a[126:127], a[14:15], v[144:147]// 000000007C80: D3F30090 1E421D7E
	v_mfma_f32_16x16x32_fp8_fp8 v[124:127], a[112:113], a[16:17], v[124:127]// 000000007C88: D3F3007C 1DF22170
	v_mfma_f32_16x16x32_fp8_fp8 v[124:127], a[114:115], a[18:19], v[124:127]// 000000007C90: D3F3007C 1DF22572
	v_mfma_f32_16x16x32_fp8_fp8 v[124:127], a[116:117], a[20:21], v[124:127]// 000000007C98: D3F3007C 1DF22974
	ds_read_b128 a[80:83], v2 offset:14464                     // 000000007CA0: DBFE3880 50000002
	ds_read_b128 a[84:87], v2 offset:14528                     // 000000007CA8: DBFE38C0 54000002
	v_mfma_f32_16x16x32_fp8_fp8 v[124:127], a[118:119], a[22:23], v[124:127]// 000000007CB0: D3F3007C 1DF22D76
	v_mfma_f32_16x16x32_fp8_fp8 v[148:151], a[120:121], a[16:17], v[148:151]// 000000007CB8: D3F30094 1E522178
	v_mfma_f32_16x16x32_fp8_fp8 v[148:151], a[122:123], a[18:19], v[148:151]// 000000007CC0: D3F30094 1E52257A
	v_mfma_f32_16x16x32_fp8_fp8 v[148:151], a[124:125], a[20:21], v[148:151]// 000000007CC8: D3F30094 1E52297C
	ds_read_b128 a[88:91], v2 offset:14976                     // 000000007CD0: DBFE3A80 58000002
	ds_read_b128 a[92:95], v2 offset:15040                     // 000000007CD8: DBFE3AC0 5C000002
	v_mfma_f32_16x16x32_fp8_fp8 v[148:151], a[126:127], a[22:23], v[148:151]// 000000007CE0: D3F30094 1E522D7E
	v_mfma_f32_16x16x32_fp8_fp8 v[128:131], a[112:113], a[24:25], v[128:131]// 000000007CE8: D3F30080 1E023170
	v_mfma_f32_16x16x32_fp8_fp8 v[128:131], a[114:115], a[26:27], v[128:131]// 000000007CF0: D3F30080 1E023572
	v_mfma_f32_16x16x32_fp8_fp8 v[128:131], a[116:117], a[28:29], v[128:131]// 000000007CF8: D3F30080 1E023974
	v_mfma_f32_16x16x32_fp8_fp8 v[128:131], a[118:119], a[30:31], v[128:131]// 000000007D00: D3F30080 1E023D76
	v_mfma_f32_16x16x32_fp8_fp8 v[152:155], a[120:121], a[24:25], v[152:155]// 000000007D08: D3F30098 1E623178
	v_mfma_f32_16x16x32_fp8_fp8 v[152:155], a[122:123], a[26:27], v[152:155]// 000000007D10: D3F30098 1E62357A
	v_mfma_f32_16x16x32_fp8_fp8 v[152:155], a[124:125], a[28:29], v[152:155]// 000000007D18: D3F30098 1E62397C
	v_mfma_f32_16x16x32_fp8_fp8 v[152:155], a[126:127], a[30:31], v[152:155]// 000000007D20: D3F30098 1E623D7E
	v_mfma_f32_16x16x32_fp8_fp8 v[132:135], a[112:113], a[32:33], v[132:135]// 000000007D28: D3F30084 1E124170
	v_mfma_f32_16x16x32_fp8_fp8 v[132:135], a[114:115], a[34:35], v[132:135]// 000000007D30: D3F30084 1E124572
	v_mfma_f32_16x16x32_fp8_fp8 v[132:135], a[116:117], a[36:37], v[132:135]// 000000007D38: D3F30084 1E124974
	v_mfma_f32_16x16x32_fp8_fp8 v[132:135], a[118:119], a[38:39], v[132:135]// 000000007D40: D3F30084 1E124D76
	v_mfma_f32_16x16x32_fp8_fp8 v[156:159], a[120:121], a[32:33], v[156:159]// 000000007D48: D3F3009C 1E724178
	v_mfma_f32_16x16x32_fp8_fp8 v[156:159], a[122:123], a[34:35], v[156:159]// 000000007D50: D3F3009C 1E72457A
	v_mfma_f32_16x16x32_fp8_fp8 v[156:159], a[124:125], a[36:37], v[156:159]// 000000007D58: D3F3009C 1E72497C
	v_mfma_f32_16x16x32_fp8_fp8 v[156:159], a[126:127], a[38:39], v[156:159]// 000000007D60: D3F3009C 1E724D7E
	v_mfma_f32_16x16x32_fp8_fp8 v[136:139], a[112:113], a[40:41], v[136:139]// 000000007D68: D3F30088 1E225170
	v_mfma_f32_16x16x32_fp8_fp8 v[136:139], a[114:115], a[42:43], v[136:139]// 000000007D70: D3F30088 1E225572
	v_mfma_f32_16x16x32_fp8_fp8 v[136:139], a[116:117], a[44:45], v[136:139]// 000000007D78: D3F30088 1E225974
	s_add_u32 s60, 0x180, s80                                  // 000000007D80: 803C50FF 00000180
	s_cmp_lt_u32 s60, s81                                      // 000000007D88: BF0A513C
	s_cselect_b32 s57, s57, 0                                  // 000000007D8C: 85398039
	v_mfma_f32_16x16x32_fp8_fp8 v[136:139], a[118:119], a[46:47], v[136:139]// 000000007D90: D3F30088 1E225D76
	s_add_u32 s60, 0x100, s80                                  // 000000007D98: 803C50FF 00000100
	s_cmp_lt_u32 s60, s81                                      // 000000007DA0: BF0A513C
	s_cselect_b32 s58, s58, 0                                  // 000000007DA4: 853A803A
	v_mfma_f32_16x16x32_fp8_fp8 v[160:163], a[120:121], a[40:41], v[160:163]// 000000007DA8: D3F300A0 1E825178
	s_add_u32 s24, s58, s24                                    // 000000007DB0: 8018183A
	s_addc_u32 s25, 0, s25                                     // 000000007DB4: 82191980
	v_mfma_f32_16x16x32_fp8_fp8 v[160:163], a[122:123], a[42:43], v[160:163]// 000000007DB8: D3F300A0 1E82557A
	s_add_u32 s20, s57, s20                                    // 000000007DC0: 80141439
	s_addc_u32 s21, 0, s21                                     // 000000007DC4: 82151580
	v_mfma_f32_16x16x32_fp8_fp8 v[160:163], a[124:125], a[44:45], v[160:163]// 000000007DC8: D3F300A0 1E82597C
	s_add_u32 s84, s83, s84                                    // 000000007DD0: 80545453
	s_addc_u32 s85, 0, s85                                     // 000000007DD4: 82555580
	v_mfma_f32_16x16x32_fp8_fp8 v[160:163], a[126:127], a[46:47], v[160:163]// 000000007DD8: D3F300A0 1E825D7E
	s_addk_i32 s80, 0x80                                       // 000000007DE0: B7500080
	s_cmp_lt_i32 s80, s81                                      // 000000007DE4: BF045150
	s_cbranch_scc0 label_162F                                  // 000000007DE8: BF840131
	s_waitcnt vmcnt(2) lgkmcnt(0)                              // 000000007DEC: BF8C0072
	s_barrier                                                  // 000000007DF0: BF8A0000
	v_mfma_f32_16x16x32_fp8_fp8 v[68:71], a[96:97], a[48:49], v[68:71]// 000000007DF4: D3F30044 1D126160
	buffer_load_dwordx4 a[112:115], v64, s[84:87], 0 offen     // 000000007DFC: E05C1000 80957040
	v_mfma_f32_16x16x32_fp8_fp8 v[68:71], a[98:99], a[50:51], v[68:71]// 000000007E04: D3F30044 1D126562
	v_mfma_f32_16x16x32_fp8_fp8 v[68:71], a[100:101], a[52:53], v[68:71]// 000000007E0C: D3F30044 1D126964
	v_mfma_f32_16x16x32_fp8_fp8 v[68:71], a[102:103], a[54:55], v[68:71]// 000000007E14: D3F30044 1D126D66
	v_mfma_f32_16x16x32_fp8_fp8 v[72:75], a[96:97], a[56:57], v[72:75]// 000000007E1C: D3F30048 1D227160
	buffer_load_dwordx4 a[116:119], v64, s[84:87], 0 offen offset:1024// 000000007E24: E05C1400 80957440
	v_mfma_f32_16x16x32_fp8_fp8 v[72:75], a[98:99], a[58:59], v[72:75]// 000000007E2C: D3F30048 1D227562
	v_mfma_f32_16x16x32_fp8_fp8 v[72:75], a[100:101], a[60:61], v[72:75]// 000000007E34: D3F30048 1D227964
	v_mfma_f32_16x16x32_fp8_fp8 v[72:75], a[102:103], a[62:63], v[72:75]// 000000007E3C: D3F30048 1D227D66
	v_mfma_f32_16x16x32_fp8_fp8 v[76:79], a[96:97], a[64:65], v[76:79]// 000000007E44: D3F3004C 1D328160
	buffer_load_dwordx4 a[120:123], v65, s[84:87], 0 offen     // 000000007E4C: E05C1000 80957841
	v_mfma_f32_16x16x32_fp8_fp8 v[76:79], a[98:99], a[66:67], v[76:79]// 000000007E54: D3F3004C 1D328562
	v_mfma_f32_16x16x32_fp8_fp8 v[76:79], a[100:101], a[68:69], v[76:79]// 000000007E5C: D3F3004C 1D328964
	v_mfma_f32_16x16x32_fp8_fp8 v[76:79], a[102:103], a[70:71], v[76:79]// 000000007E64: D3F3004C 1D328D66
	v_mfma_f32_16x16x32_fp8_fp8 v[80:83], a[96:97], a[72:73], v[80:83]// 000000007E6C: D3F30050 1D429160
	buffer_load_dwordx4 a[124:127], v65, s[84:87], 0 offen offset:1024// 000000007E74: E05C1400 80957C41
	buffer_load_dword v52, s[20:23], 0 offen lds               // 000000007E7C: E0511000 80050034
	s_add_u32 m0, 0x100, s49                                   // 000000007E84: 807C31FF 00000100
	v_mfma_f32_16x16x32_fp8_fp8 v[80:83], a[98:99], a[74:75], v[80:83]// 000000007E8C: D3F30050 1D429562
	v_mfma_f32_16x16x32_fp8_fp8 v[80:83], a[100:101], a[76:77], v[80:83]// 000000007E94: D3F30050 1D429964
	buffer_load_dword v53, s[20:23], 0 offen lds               // 000000007E9C: E0511000 80050035
	s_add_u32 m0, 0x200, s49                                   // 000000007EA4: 807C31FF 00000200
	v_mfma_f32_16x16x32_fp8_fp8 v[80:83], a[102:103], a[78:79], v[80:83]// 000000007EAC: D3F30050 1D429D66
	v_mfma_f32_16x16x32_fp8_fp8 v[84:87], a[96:97], a[80:81], v[84:87]// 000000007EB4: D3F30054 1D52A160
	buffer_load_dword v54, s[20:23], 0 offen lds               // 000000007EBC: E0511000 80050036
	s_add_u32 m0, 0x300, s49                                   // 000000007EC4: 807C31FF 00000300
	v_mfma_f32_16x16x32_fp8_fp8 v[84:87], a[98:99], a[82:83], v[84:87]// 000000007ECC: D3F30054 1D52A562
	v_mfma_f32_16x16x32_fp8_fp8 v[84:87], a[100:101], a[84:85], v[84:87]// 000000007ED4: D3F30054 1D52A964
	buffer_load_dword v55, s[20:23], 0 offen lds               // 000000007EDC: E0511000 80050037
	s_add_u32 m0, 0x400, s49                                   // 000000007EE4: 807C31FF 00000400
	v_mfma_f32_16x16x32_fp8_fp8 v[84:87], a[102:103], a[86:87], v[84:87]// 000000007EEC: D3F30054 1D52AD66
	v_mfma_f32_16x16x32_fp8_fp8 v[88:91], a[96:97], a[88:89], v[88:91]// 000000007EF4: D3F30058 1D62B160
	buffer_load_dword v56, s[20:23], 0 offen lds               // 000000007EFC: E0511000 80050038
	s_add_u32 m0, 0x500, s49                                   // 000000007F04: 807C31FF 00000500
	v_mfma_f32_16x16x32_fp8_fp8 v[88:91], a[98:99], a[90:91], v[88:91]// 000000007F0C: D3F30058 1D62B562
	v_mfma_f32_16x16x32_fp8_fp8 v[88:91], a[100:101], a[92:93], v[88:91]// 000000007F14: D3F30058 1D62B964
	buffer_load_dword v57, s[20:23], 0 offen lds               // 000000007F1C: E0511000 80050039
	s_add_u32 m0, 0x600, s49                                   // 000000007F24: 807C31FF 00000600
	v_mfma_f32_16x16x32_fp8_fp8 v[88:91], a[102:103], a[94:95], v[88:91]// 000000007F2C: D3F30058 1D62BD66
	s_waitcnt vmcnt(10)                                        // 000000007F34: BF8C0F7A
	v_mfma_f32_16x16x32_fp8_fp8 v[92:95], a[104:105], a[48:49], v[92:95]// 000000007F38: D3F3005C 1D726168
	buffer_load_dword v58, s[20:23], 0 offen lds               // 000000007F40: E0511000 8005003A
	s_add_u32 m0, 0x700, s49                                   // 000000007F48: 807C31FF 00000700
	v_mfma_f32_16x16x32_fp8_fp8 v[92:95], a[106:107], a[50:51], v[92:95]// 000000007F50: D3F3005C 1D72656A
	v_mfma_f32_16x16x32_fp8_fp8 v[92:95], a[108:109], a[52:53], v[92:95]// 000000007F58: D3F3005C 1D72696C
	buffer_load_dword v59, s[20:23], 0 offen lds               // 000000007F60: E0511000 8005003B
	s_add_u32 m0, 0x800, s49                                   // 000000007F68: 807C31FF 00000800
	v_mfma_f32_16x16x32_fp8_fp8 v[92:95], a[110:111], a[54:55], v[92:95]// 000000007F70: D3F3005C 1D726D6E
	v_mfma_f32_16x16x32_fp8_fp8 v[96:99], a[104:105], a[56:57], v[96:99]// 000000007F78: D3F30060 1D827168
	buffer_load_dword v60, s[20:23], 0 offen lds               // 000000007F80: E0511000 8005003C
	s_add_u32 m0, 0x900, s49                                   // 000000007F88: 807C31FF 00000900
	v_mfma_f32_16x16x32_fp8_fp8 v[96:99], a[106:107], a[58:59], v[96:99]// 000000007F90: D3F30060 1D82756A
	v_mfma_f32_16x16x32_fp8_fp8 v[96:99], a[108:109], a[60:61], v[96:99]// 000000007F98: D3F30060 1D82796C
	buffer_load_dword v61, s[20:23], 0 offen lds               // 000000007FA0: E0511000 8005003D
	s_add_u32 m0, 0xa00, s49                                   // 000000007FA8: 807C31FF 00000A00
	v_mfma_f32_16x16x32_fp8_fp8 v[96:99], a[110:111], a[62:63], v[96:99]// 000000007FB0: D3F30060 1D827D6E
	v_mfma_f32_16x16x32_fp8_fp8 v[100:103], a[104:105], a[64:65], v[100:103]// 000000007FB8: D3F30064 1D928168
	buffer_load_dword v62, s[20:23], 0 offen lds               // 000000007FC0: E0511000 8005003E
	s_add_u32 m0, 0xb00, s49                                   // 000000007FC8: 807C31FF 00000B00
	v_mfma_f32_16x16x32_fp8_fp8 v[100:103], a[106:107], a[66:67], v[100:103]// 000000007FD0: D3F30064 1D92856A
	v_mfma_f32_16x16x32_fp8_fp8 v[100:103], a[108:109], a[68:69], v[100:103]// 000000007FD8: D3F30064 1D92896C
	buffer_load_dword v63, s[20:23], 0 offen lds               // 000000007FE0: E0511000 8005003F
	s_add_u32 m0, 0, s48                                       // 000000007FE8: 807C3080
	v_mfma_f32_16x16x32_fp8_fp8 v[100:103], a[110:111], a[70:71], v[100:103]// 000000007FEC: D3F30064 1D928D6E
	v_mfma_f32_16x16x32_fp8_fp8 v[104:107], a[104:105], a[72:73], v[104:107]// 000000007FF4: D3F30068 1DA29168
	v_mfma_f32_16x16x32_fp8_fp8 v[104:107], a[106:107], a[74:75], v[104:107]// 000000007FFC: D3F30068 1DA2956A
	v_mfma_f32_16x16x32_fp8_fp8 v[104:107], a[108:109], a[76:77], v[104:107]// 000000008004: D3F30068 1DA2996C
	v_mfma_f32_16x16x32_fp8_fp8 v[104:107], a[110:111], a[78:79], v[104:107]// 00000000800C: D3F30068 1DA29D6E
	v_mfma_f32_16x16x32_fp8_fp8 v[108:111], a[104:105], a[80:81], v[108:111]// 000000008014: D3F3006C 1DB2A168
	v_mfma_f32_16x16x32_fp8_fp8 v[108:111], a[106:107], a[82:83], v[108:111]// 00000000801C: D3F3006C 1DB2A56A
	v_mfma_f32_16x16x32_fp8_fp8 v[108:111], a[108:109], a[84:85], v[108:111]// 000000008024: D3F3006C 1DB2A96C
	v_mfma_f32_16x16x32_fp8_fp8 v[108:111], a[110:111], a[86:87], v[108:111]// 00000000802C: D3F3006C 1DB2AD6E
	v_mfma_f32_16x16x32_fp8_fp8 v[112:115], a[104:105], a[88:89], v[112:115]// 000000008034: D3F30070 1DC2B168
	v_mfma_f32_16x16x32_fp8_fp8 v[112:115], a[106:107], a[90:91], v[112:115]// 00000000803C: D3F30070 1DC2B56A
	s_add_u32 s60, 0x80, s80                                   // 000000008044: 803C50FF 00000080
	s_cmp_lt_u32 s60, s81                                      // 00000000804C: BF0A513C
	s_cselect_b32 s83, s83, 0                                  // 000000008050: 85538053
	v_mfma_f32_16x16x32_fp8_fp8 v[112:115], a[108:109], a[92:93], v[112:115]// 000000008054: D3F30070 1DC2B96C
	v_mfma_f32_16x16x32_fp8_fp8 v[112:115], a[110:111], a[94:95], v[112:115]// 00000000805C: D3F30070 1DC2BD6E
	s_waitcnt vmcnt(12)                                        // 000000008064: BF8C0F7C
	v_mfma_f32_16x16x32_fp8_fp8 v[116:119], a[112:113], a[48:49], v[116:119]// 000000008068: D3F30074 1DD26170
	buffer_load_dwordx4 a[96:99], v64, s[24:27], 0 offen       // 000000008070: E05C1000 80866040
	v_mfma_f32_16x16x32_fp8_fp8 v[116:119], a[114:115], a[50:51], v[116:119]// 000000008078: D3F30074 1DD26572
	v_mfma_f32_16x16x32_fp8_fp8 v[116:119], a[116:117], a[52:53], v[116:119]// 000000008080: D3F30074 1DD26974
	ds_read_b128 a[0:3], v2                                    // 000000008088: DBFE0000 00000002
	ds_read_b128 a[4:7], v2 offset:64                          // 000000008090: DBFE0040 04000002
	v_mfma_f32_16x16x32_fp8_fp8 v[116:119], a[118:119], a[54:55], v[116:119]// 000000008098: D3F30074 1DD26D76
	v_mfma_f32_16x16x32_fp8_fp8 v[140:143], a[120:121], a[48:49], v[140:143]// 0000000080A0: D3F3008C 1E326178
	buffer_load_dwordx4 a[100:103], v64, s[24:27], 0 offen offset:1024// 0000000080A8: E05C1400 80866440
	v_mfma_f32_16x16x32_fp8_fp8 v[140:143], a[122:123], a[50:51], v[140:143]// 0000000080B0: D3F3008C 1E32657A
	v_mfma_f32_16x16x32_fp8_fp8 v[140:143], a[124:125], a[52:53], v[140:143]// 0000000080B8: D3F3008C 1E32697C
	ds_read_b128 a[8:11], v2 offset:512                        // 0000000080C0: DBFE0200 08000002
	ds_read_b128 a[12:15], v2 offset:576                       // 0000000080C8: DBFE0240 0C000002
	v_mfma_f32_16x16x32_fp8_fp8 v[140:143], a[126:127], a[54:55], v[140:143]// 0000000080D0: D3F3008C 1E326D7E
	v_mfma_f32_16x16x32_fp8_fp8 v[120:123], a[112:113], a[56:57], v[120:123]// 0000000080D8: D3F30078 1DE27170
	buffer_load_dwordx4 a[104:107], v65, s[24:27], 0 offen     // 0000000080E0: E05C1000 80866841
	v_mfma_f32_16x16x32_fp8_fp8 v[120:123], a[114:115], a[58:59], v[120:123]// 0000000080E8: D3F30078 1DE27572
	v_mfma_f32_16x16x32_fp8_fp8 v[120:123], a[116:117], a[60:61], v[120:123]// 0000000080F0: D3F30078 1DE27974
	ds_read_b128 a[16:19], v2 offset:1024                      // 0000000080F8: DBFE0400 10000002
	ds_read_b128 a[20:23], v2 offset:1088                      // 000000008100: DBFE0440 14000002
	v_mfma_f32_16x16x32_fp8_fp8 v[120:123], a[118:119], a[62:63], v[120:123]// 000000008108: D3F30078 1DE27D76
	v_mfma_f32_16x16x32_fp8_fp8 v[144:147], a[120:121], a[56:57], v[144:147]// 000000008110: D3F30090 1E427178
	buffer_load_dwordx4 a[108:111], v65, s[24:27], 0 offen offset:1024// 000000008118: E05C1400 80866C41
	v_mfma_f32_16x16x32_fp8_fp8 v[144:147], a[122:123], a[58:59], v[144:147]// 000000008120: D3F30090 1E42757A
	v_mfma_f32_16x16x32_fp8_fp8 v[144:147], a[124:125], a[60:61], v[144:147]// 000000008128: D3F30090 1E42797C
	ds_read_b128 a[24:27], v2 offset:1536                      // 000000008130: DBFE0600 18000002
	ds_read_b128 a[28:31], v2 offset:1600                      // 000000008138: DBFE0640 1C000002
	v_mfma_f32_16x16x32_fp8_fp8 v[144:147], a[126:127], a[62:63], v[144:147]// 000000008140: D3F30090 1E427D7E
	v_mfma_f32_16x16x32_fp8_fp8 v[124:127], a[112:113], a[64:65], v[124:127]// 000000008148: D3F3007C 1DF28170
	v_mfma_f32_16x16x32_fp8_fp8 v[124:127], a[114:115], a[66:67], v[124:127]// 000000008150: D3F3007C 1DF28572
	v_mfma_f32_16x16x32_fp8_fp8 v[124:127], a[116:117], a[68:69], v[124:127]// 000000008158: D3F3007C 1DF28974
	ds_read_b128 a[32:35], v2 offset:2048                      // 000000008160: DBFE0800 20000002
	ds_read_b128 a[36:39], v2 offset:2112                      // 000000008168: DBFE0840 24000002
	v_mfma_f32_16x16x32_fp8_fp8 v[124:127], a[118:119], a[70:71], v[124:127]// 000000008170: D3F3007C 1DF28D76
	v_mfma_f32_16x16x32_fp8_fp8 v[148:151], a[120:121], a[64:65], v[148:151]// 000000008178: D3F30094 1E528178
	v_mfma_f32_16x16x32_fp8_fp8 v[148:151], a[122:123], a[66:67], v[148:151]// 000000008180: D3F30094 1E52857A
	v_mfma_f32_16x16x32_fp8_fp8 v[148:151], a[124:125], a[68:69], v[148:151]// 000000008188: D3F30094 1E52897C
	ds_read_b128 a[40:43], v2 offset:2560                      // 000000008190: DBFE0A00 28000002
	ds_read_b128 a[44:47], v2 offset:2624                      // 000000008198: DBFE0A40 2C000002
	v_mfma_f32_16x16x32_fp8_fp8 v[148:151], a[126:127], a[70:71], v[148:151]// 0000000081A0: D3F30094 1E528D7E
	v_mfma_f32_16x16x32_fp8_fp8 v[128:131], a[112:113], a[72:73], v[128:131]// 0000000081A8: D3F30080 1E029170
	v_mfma_f32_16x16x32_fp8_fp8 v[128:131], a[114:115], a[74:75], v[128:131]// 0000000081B0: D3F30080 1E029572
	v_mfma_f32_16x16x32_fp8_fp8 v[128:131], a[116:117], a[76:77], v[128:131]// 0000000081B8: D3F30080 1E029974
	v_mfma_f32_16x16x32_fp8_fp8 v[128:131], a[118:119], a[78:79], v[128:131]// 0000000081C0: D3F30080 1E029D76
	v_mfma_f32_16x16x32_fp8_fp8 v[152:155], a[120:121], a[72:73], v[152:155]// 0000000081C8: D3F30098 1E629178
	v_mfma_f32_16x16x32_fp8_fp8 v[152:155], a[122:123], a[74:75], v[152:155]// 0000000081D0: D3F30098 1E62957A
	v_mfma_f32_16x16x32_fp8_fp8 v[152:155], a[124:125], a[76:77], v[152:155]// 0000000081D8: D3F30098 1E62997C
	v_mfma_f32_16x16x32_fp8_fp8 v[152:155], a[126:127], a[78:79], v[152:155]// 0000000081E0: D3F30098 1E629D7E
	v_mfma_f32_16x16x32_fp8_fp8 v[132:135], a[112:113], a[80:81], v[132:135]// 0000000081E8: D3F30084 1E12A170
	v_mfma_f32_16x16x32_fp8_fp8 v[132:135], a[114:115], a[82:83], v[132:135]// 0000000081F0: D3F30084 1E12A572
	v_mfma_f32_16x16x32_fp8_fp8 v[132:135], a[116:117], a[84:85], v[132:135]// 0000000081F8: D3F30084 1E12A974
	v_mfma_f32_16x16x32_fp8_fp8 v[132:135], a[118:119], a[86:87], v[132:135]// 000000008200: D3F30084 1E12AD76
	v_mfma_f32_16x16x32_fp8_fp8 v[156:159], a[120:121], a[80:81], v[156:159]// 000000008208: D3F3009C 1E72A178
	v_mfma_f32_16x16x32_fp8_fp8 v[156:159], a[122:123], a[82:83], v[156:159]// 000000008210: D3F3009C 1E72A57A
	v_mfma_f32_16x16x32_fp8_fp8 v[156:159], a[124:125], a[84:85], v[156:159]// 000000008218: D3F3009C 1E72A97C
	v_mfma_f32_16x16x32_fp8_fp8 v[156:159], a[126:127], a[86:87], v[156:159]// 000000008220: D3F3009C 1E72AD7E
	v_mfma_f32_16x16x32_fp8_fp8 v[136:139], a[112:113], a[88:89], v[136:139]// 000000008228: D3F30088 1E22B170
	v_mfma_f32_16x16x32_fp8_fp8 v[136:139], a[114:115], a[90:91], v[136:139]// 000000008230: D3F30088 1E22B572
	v_mfma_f32_16x16x32_fp8_fp8 v[136:139], a[116:117], a[92:93], v[136:139]// 000000008238: D3F30088 1E22B974
	s_add_u32 s60, 0x180, s80                                  // 000000008240: 803C50FF 00000180
	s_cmp_lt_u32 s60, s81                                      // 000000008248: BF0A513C
	s_cselect_b32 s57, s57, 0                                  // 00000000824C: 85398039
	v_mfma_f32_16x16x32_fp8_fp8 v[136:139], a[118:119], a[94:95], v[136:139]// 000000008250: D3F30088 1E22BD76
	s_add_u32 s60, 0x100, s80                                  // 000000008258: 803C50FF 00000100
	s_cmp_lt_u32 s60, s81                                      // 000000008260: BF0A513C
	s_cselect_b32 s58, s58, 0                                  // 000000008264: 853A803A
	v_mfma_f32_16x16x32_fp8_fp8 v[160:163], a[120:121], a[88:89], v[160:163]// 000000008268: D3F300A0 1E82B178
	s_add_u32 s24, s58, s24                                    // 000000008270: 8018183A
	s_addc_u32 s25, 0, s25                                     // 000000008274: 82191980
	v_mfma_f32_16x16x32_fp8_fp8 v[160:163], a[122:123], a[90:91], v[160:163]// 000000008278: D3F300A0 1E82B57A
	s_add_u32 s20, s57, s20                                    // 000000008280: 80141439
	s_addc_u32 s21, 0, s21                                     // 000000008284: 82151580
	v_mfma_f32_16x16x32_fp8_fp8 v[160:163], a[124:125], a[92:93], v[160:163]// 000000008288: D3F300A0 1E82B97C
	s_add_u32 s84, s83, s84                                    // 000000008290: 80545453
	s_addc_u32 s85, 0, s85                                     // 000000008294: 82555580
	v_mfma_f32_16x16x32_fp8_fp8 v[160:163], a[126:127], a[94:95], v[160:163]// 000000008298: D3F300A0 1E82BD7E
	s_addk_i32 s80, 0x80                                       // 0000000082A0: B7500080
	s_cmp_lt_i32 s80, s81                                      // 0000000082A4: BF045150
	s_cbranch_scc0 label_162F                                  // 0000000082A8: BF840001
	s_branch label_13CE                                        // 0000000082AC: BF82FD9F

00000000000082b0 <label_162F>:
	v_mul_f32_dpp v68, v24, v68 row_newbcast:0 row_mask:0xf bank_mask:0xf// 0000000082B0: 0A8888FA FF015018
	v_mul_f32_dpp v69, v24, v69 row_newbcast:1 row_mask:0xf bank_mask:0xf// 0000000082B8: 0A8A8AFA FF015118
	v_mul_f32_dpp v70, v24, v70 row_newbcast:2 row_mask:0xf bank_mask:0xf// 0000000082C0: 0A8C8CFA FF015218
	v_mul_f32_dpp v71, v24, v71 row_newbcast:3 row_mask:0xf bank_mask:0xf// 0000000082C8: 0A8E8EFA FF015318
	v_mul_f32_dpp v72, v24, v72 row_newbcast:0 row_mask:0xf bank_mask:0xf// 0000000082D0: 0A9090FA FF015018
	v_mul_f32_dpp v73, v24, v73 row_newbcast:1 row_mask:0xf bank_mask:0xf// 0000000082D8: 0A9292FA FF015118
	v_mul_f32_dpp v74, v24, v74 row_newbcast:2 row_mask:0xf bank_mask:0xf// 0000000082E0: 0A9494FA FF015218
	v_mul_f32_dpp v75, v24, v75 row_newbcast:3 row_mask:0xf bank_mask:0xf// 0000000082E8: 0A9696FA FF015318
	v_mul_f32_dpp v76, v24, v76 row_newbcast:0 row_mask:0xf bank_mask:0xf// 0000000082F0: 0A9898FA FF015018
	v_mul_f32_dpp v77, v24, v77 row_newbcast:1 row_mask:0xf bank_mask:0xf// 0000000082F8: 0A9A9AFA FF015118
	v_mul_f32_dpp v78, v24, v78 row_newbcast:2 row_mask:0xf bank_mask:0xf// 000000008300: 0A9C9CFA FF015218
	v_mul_f32_dpp v79, v24, v79 row_newbcast:3 row_mask:0xf bank_mask:0xf// 000000008308: 0A9E9EFA FF015318
	v_mul_f32_dpp v80, v24, v80 row_newbcast:0 row_mask:0xf bank_mask:0xf// 000000008310: 0AA0A0FA FF015018
	v_mul_f32_dpp v81, v24, v81 row_newbcast:1 row_mask:0xf bank_mask:0xf// 000000008318: 0AA2A2FA FF015118
	v_mul_f32_dpp v82, v24, v82 row_newbcast:2 row_mask:0xf bank_mask:0xf// 000000008320: 0AA4A4FA FF015218
	v_mul_f32_dpp v83, v24, v83 row_newbcast:3 row_mask:0xf bank_mask:0xf// 000000008328: 0AA6A6FA FF015318
	v_mul_f32_dpp v84, v24, v84 row_newbcast:0 row_mask:0xf bank_mask:0xf// 000000008330: 0AA8A8FA FF015018
	v_mul_f32_dpp v85, v24, v85 row_newbcast:1 row_mask:0xf bank_mask:0xf// 000000008338: 0AAAAAFA FF015118
	v_mul_f32_dpp v86, v24, v86 row_newbcast:2 row_mask:0xf bank_mask:0xf// 000000008340: 0AACACFA FF015218
	v_mul_f32_dpp v87, v24, v87 row_newbcast:3 row_mask:0xf bank_mask:0xf// 000000008348: 0AAEAEFA FF015318
	v_mul_f32_dpp v88, v24, v88 row_newbcast:0 row_mask:0xf bank_mask:0xf// 000000008350: 0AB0B0FA FF015018
	v_mul_f32_dpp v89, v24, v89 row_newbcast:1 row_mask:0xf bank_mask:0xf// 000000008358: 0AB2B2FA FF015118
	v_mul_f32_dpp v90, v24, v90 row_newbcast:2 row_mask:0xf bank_mask:0xf// 000000008360: 0AB4B4FA FF015218
	v_mul_f32_dpp v91, v24, v91 row_newbcast:3 row_mask:0xf bank_mask:0xf// 000000008368: 0AB6B6FA FF015318
	v_mul_f32_dpp v92, v24, v92 row_newbcast:4 row_mask:0xf bank_mask:0xf// 000000008370: 0AB8B8FA FF015418
	v_mul_f32_dpp v93, v24, v93 row_newbcast:5 row_mask:0xf bank_mask:0xf// 000000008378: 0ABABAFA FF015518
	v_mul_f32_dpp v94, v24, v94 row_newbcast:6 row_mask:0xf bank_mask:0xf// 000000008380: 0ABCBCFA FF015618
	v_mul_f32_dpp v95, v24, v95 row_newbcast:7 row_mask:0xf bank_mask:0xf// 000000008388: 0ABEBEFA FF015718
	v_mul_f32_dpp v96, v24, v96 row_newbcast:4 row_mask:0xf bank_mask:0xf// 000000008390: 0AC0C0FA FF015418
	v_mul_f32_dpp v97, v24, v97 row_newbcast:5 row_mask:0xf bank_mask:0xf// 000000008398: 0AC2C2FA FF015518
	v_mul_f32_dpp v98, v24, v98 row_newbcast:6 row_mask:0xf bank_mask:0xf// 0000000083A0: 0AC4C4FA FF015618
	v_mul_f32_dpp v99, v24, v99 row_newbcast:7 row_mask:0xf bank_mask:0xf// 0000000083A8: 0AC6C6FA FF015718
	v_mul_f32_dpp v100, v24, v100 row_newbcast:4 row_mask:0xf bank_mask:0xf// 0000000083B0: 0AC8C8FA FF015418
	v_mul_f32_dpp v101, v24, v101 row_newbcast:5 row_mask:0xf bank_mask:0xf// 0000000083B8: 0ACACAFA FF015518
	v_mul_f32_dpp v102, v24, v102 row_newbcast:6 row_mask:0xf bank_mask:0xf// 0000000083C0: 0ACCCCFA FF015618
	v_mul_f32_dpp v103, v24, v103 row_newbcast:7 row_mask:0xf bank_mask:0xf// 0000000083C8: 0ACECEFA FF015718
	v_mul_f32_dpp v104, v24, v104 row_newbcast:4 row_mask:0xf bank_mask:0xf// 0000000083D0: 0AD0D0FA FF015418
	v_mul_f32_dpp v105, v24, v105 row_newbcast:5 row_mask:0xf bank_mask:0xf// 0000000083D8: 0AD2D2FA FF015518
	v_mul_f32_dpp v106, v24, v106 row_newbcast:6 row_mask:0xf bank_mask:0xf// 0000000083E0: 0AD4D4FA FF015618
	v_mul_f32_dpp v107, v24, v107 row_newbcast:7 row_mask:0xf bank_mask:0xf// 0000000083E8: 0AD6D6FA FF015718
	v_mul_f32_dpp v108, v24, v108 row_newbcast:4 row_mask:0xf bank_mask:0xf// 0000000083F0: 0AD8D8FA FF015418
	v_mul_f32_dpp v109, v24, v109 row_newbcast:5 row_mask:0xf bank_mask:0xf// 0000000083F8: 0ADADAFA FF015518
	v_mul_f32_dpp v110, v24, v110 row_newbcast:6 row_mask:0xf bank_mask:0xf// 000000008400: 0ADCDCFA FF015618
	v_mul_f32_dpp v111, v24, v111 row_newbcast:7 row_mask:0xf bank_mask:0xf// 000000008408: 0ADEDEFA FF015718
	v_mul_f32_dpp v112, v24, v112 row_newbcast:4 row_mask:0xf bank_mask:0xf// 000000008410: 0AE0E0FA FF015418
	v_mul_f32_dpp v113, v24, v113 row_newbcast:5 row_mask:0xf bank_mask:0xf// 000000008418: 0AE2E2FA FF015518
	v_mul_f32_dpp v114, v24, v114 row_newbcast:6 row_mask:0xf bank_mask:0xf// 000000008420: 0AE4E4FA FF015618
	v_mul_f32_dpp v115, v24, v115 row_newbcast:7 row_mask:0xf bank_mask:0xf// 000000008428: 0AE6E6FA FF015718
	v_mul_f32_dpp v116, v26, v116 row_newbcast:0 row_mask:0xf bank_mask:0xf// 000000008430: 0AE8E8FA FF01501A
	v_mul_f32_dpp v117, v26, v117 row_newbcast:1 row_mask:0xf bank_mask:0xf// 000000008438: 0AEAEAFA FF01511A
	v_mul_f32_dpp v118, v26, v118 row_newbcast:2 row_mask:0xf bank_mask:0xf// 000000008440: 0AECECFA FF01521A
	v_mul_f32_dpp v119, v26, v119 row_newbcast:3 row_mask:0xf bank_mask:0xf// 000000008448: 0AEEEEFA FF01531A
	v_mul_f32_dpp v120, v26, v120 row_newbcast:0 row_mask:0xf bank_mask:0xf// 000000008450: 0AF0F0FA FF01501A
	v_mul_f32_dpp v121, v26, v121 row_newbcast:1 row_mask:0xf bank_mask:0xf// 000000008458: 0AF2F2FA FF01511A
	v_mul_f32_dpp v122, v26, v122 row_newbcast:2 row_mask:0xf bank_mask:0xf// 000000008460: 0AF4F4FA FF01521A
	v_mul_f32_dpp v123, v26, v123 row_newbcast:3 row_mask:0xf bank_mask:0xf// 000000008468: 0AF6F6FA FF01531A
	v_mul_f32_dpp v124, v26, v124 row_newbcast:0 row_mask:0xf bank_mask:0xf// 000000008470: 0AF8F8FA FF01501A
	v_mul_f32_dpp v125, v26, v125 row_newbcast:1 row_mask:0xf bank_mask:0xf// 000000008478: 0AFAFAFA FF01511A
	v_mul_f32_dpp v126, v26, v126 row_newbcast:2 row_mask:0xf bank_mask:0xf// 000000008480: 0AFCFCFA FF01521A
	v_mul_f32_dpp v127, v26, v127 row_newbcast:3 row_mask:0xf bank_mask:0xf// 000000008488: 0AFEFEFA FF01531A
	v_mul_f32_dpp v128, v26, v128 row_newbcast:0 row_mask:0xf bank_mask:0xf// 000000008490: 0B0100FA FF01501A
	v_mul_f32_dpp v129, v26, v129 row_newbcast:1 row_mask:0xf bank_mask:0xf// 000000008498: 0B0302FA FF01511A
	v_mul_f32_dpp v130, v26, v130 row_newbcast:2 row_mask:0xf bank_mask:0xf// 0000000084A0: 0B0504FA FF01521A
	v_mul_f32_dpp v131, v26, v131 row_newbcast:3 row_mask:0xf bank_mask:0xf// 0000000084A8: 0B0706FA FF01531A
	v_mul_f32_dpp v132, v26, v132 row_newbcast:0 row_mask:0xf bank_mask:0xf// 0000000084B0: 0B0908FA FF01501A
	v_mul_f32_dpp v133, v26, v133 row_newbcast:1 row_mask:0xf bank_mask:0xf// 0000000084B8: 0B0B0AFA FF01511A
	v_mul_f32_dpp v134, v26, v134 row_newbcast:2 row_mask:0xf bank_mask:0xf// 0000000084C0: 0B0D0CFA FF01521A
	v_mul_f32_dpp v135, v26, v135 row_newbcast:3 row_mask:0xf bank_mask:0xf// 0000000084C8: 0B0F0EFA FF01531A
	v_mul_f32_dpp v136, v26, v136 row_newbcast:0 row_mask:0xf bank_mask:0xf// 0000000084D0: 0B1110FA FF01501A
	v_mul_f32_dpp v137, v26, v137 row_newbcast:1 row_mask:0xf bank_mask:0xf// 0000000084D8: 0B1312FA FF01511A
	v_mul_f32_dpp v138, v26, v138 row_newbcast:2 row_mask:0xf bank_mask:0xf// 0000000084E0: 0B1514FA FF01521A
	v_mul_f32_dpp v139, v26, v139 row_newbcast:3 row_mask:0xf bank_mask:0xf// 0000000084E8: 0B1716FA FF01531A
	v_mul_f32_dpp v140, v26, v140 row_newbcast:4 row_mask:0xf bank_mask:0xf// 0000000084F0: 0B1918FA FF01541A
	v_mul_f32_dpp v141, v26, v141 row_newbcast:5 row_mask:0xf bank_mask:0xf// 0000000084F8: 0B1B1AFA FF01551A
	v_mul_f32_dpp v142, v26, v142 row_newbcast:6 row_mask:0xf bank_mask:0xf// 000000008500: 0B1D1CFA FF01561A
	v_mul_f32_dpp v143, v26, v143 row_newbcast:7 row_mask:0xf bank_mask:0xf// 000000008508: 0B1F1EFA FF01571A
	v_mul_f32_dpp v144, v26, v144 row_newbcast:4 row_mask:0xf bank_mask:0xf// 000000008510: 0B2120FA FF01541A
	v_mul_f32_dpp v145, v26, v145 row_newbcast:5 row_mask:0xf bank_mask:0xf// 000000008518: 0B2322FA FF01551A
	v_mul_f32_dpp v146, v26, v146 row_newbcast:6 row_mask:0xf bank_mask:0xf// 000000008520: 0B2524FA FF01561A
	v_mul_f32_dpp v147, v26, v147 row_newbcast:7 row_mask:0xf bank_mask:0xf// 000000008528: 0B2726FA FF01571A
	v_mul_f32_dpp v148, v26, v148 row_newbcast:4 row_mask:0xf bank_mask:0xf// 000000008530: 0B2928FA FF01541A
	v_mul_f32_dpp v149, v26, v149 row_newbcast:5 row_mask:0xf bank_mask:0xf// 000000008538: 0B2B2AFA FF01551A
	v_mul_f32_dpp v150, v26, v150 row_newbcast:6 row_mask:0xf bank_mask:0xf// 000000008540: 0B2D2CFA FF01561A
	v_mul_f32_dpp v151, v26, v151 row_newbcast:7 row_mask:0xf bank_mask:0xf// 000000008548: 0B2F2EFA FF01571A
	v_mul_f32_dpp v152, v26, v152 row_newbcast:4 row_mask:0xf bank_mask:0xf// 000000008550: 0B3130FA FF01541A
	v_mul_f32_dpp v153, v26, v153 row_newbcast:5 row_mask:0xf bank_mask:0xf// 000000008558: 0B3332FA FF01551A
	v_mul_f32_dpp v154, v26, v154 row_newbcast:6 row_mask:0xf bank_mask:0xf// 000000008560: 0B3534FA FF01561A
	v_mul_f32_dpp v155, v26, v155 row_newbcast:7 row_mask:0xf bank_mask:0xf// 000000008568: 0B3736FA FF01571A
	v_mul_f32_dpp v156, v26, v156 row_newbcast:4 row_mask:0xf bank_mask:0xf// 000000008570: 0B3938FA FF01541A
	v_mul_f32_dpp v157, v26, v157 row_newbcast:5 row_mask:0xf bank_mask:0xf// 000000008578: 0B3B3AFA FF01551A
	v_mul_f32_dpp v158, v26, v158 row_newbcast:6 row_mask:0xf bank_mask:0xf// 000000008580: 0B3D3CFA FF01561A
	v_mul_f32_dpp v159, v26, v159 row_newbcast:7 row_mask:0xf bank_mask:0xf// 000000008588: 0B3F3EFA FF01571A
	v_mul_f32_dpp v160, v26, v160 row_newbcast:4 row_mask:0xf bank_mask:0xf// 000000008590: 0B4140FA FF01541A
	v_mul_f32_dpp v161, v26, v161 row_newbcast:5 row_mask:0xf bank_mask:0xf// 000000008598: 0B4342FA FF01551A
	v_mul_f32_dpp v162, v26, v162 row_newbcast:6 row_mask:0xf bank_mask:0xf// 0000000085A0: 0B4544FA FF01561A
	v_mul_f32_dpp v163, v26, v163 row_newbcast:7 row_mask:0xf bank_mask:0xf// 0000000085A8: 0B4746FA FF01571A
	v_mul_f32_e32 v34, v34, v164                               // 0000000085B0: 0A454922
	v_mov_b32_e32 v4, v34                                      // 0000000085B4: 7E080322
	v_mov_b32_e32 v5, v4                                       // 0000000085B8: 7E0A0304
	v_pk_mul_f32 v[68:69], v[4:5], v[68:69]                    // 0000000085BC: D3B14044 18028904
	v_pk_mul_f32 v[116:117], v[4:5], v[116:117]                // 0000000085C4: D3B14074 1802E904
	v_pk_mul_f32 v[70:71], v[4:5], v[70:71]                    // 0000000085CC: D3B14046 18028D04
	v_pk_mul_f32 v[118:119], v[4:5], v[118:119]                // 0000000085D4: D3B14076 1802ED04
	v_pk_mul_f32 v[92:93], v[4:5], v[92:93]                    // 0000000085DC: D3B1405C 1802B904
	v_pk_mul_f32 v[140:141], v[4:5], v[140:141]                // 0000000085E4: D3B1408C 18031904
	v_pk_mul_f32 v[94:95], v[4:5], v[94:95]                    // 0000000085EC: D3B1405E 1802BD04
	v_pk_mul_f32 v[142:143], v[4:5], v[142:143]                // 0000000085F4: D3B1408E 18031D04
	v_mul_f32_e32 v35, v35, v165                               // 0000000085FC: 0A474B23
	v_mov_b32_e32 v4, v35                                      // 000000008600: 7E080323
	v_mov_b32_e32 v5, v4                                       // 000000008604: 7E0A0304
	v_pk_mul_f32 v[72:73], v[4:5], v[72:73]                    // 000000008608: D3B14048 18029104
	v_pk_mul_f32 v[120:121], v[4:5], v[120:121]                // 000000008610: D3B14078 1802F104
	v_pk_mul_f32 v[74:75], v[4:5], v[74:75]                    // 000000008618: D3B1404A 18029504
	v_pk_mul_f32 v[122:123], v[4:5], v[122:123]                // 000000008620: D3B1407A 1802F504
	v_pk_mul_f32 v[96:97], v[4:5], v[96:97]                    // 000000008628: D3B14060 1802C104
	v_pk_mul_f32 v[144:145], v[4:5], v[144:145]                // 000000008630: D3B14090 18032104
	v_pk_mul_f32 v[98:99], v[4:5], v[98:99]                    // 000000008638: D3B14062 1802C504
	v_pk_mul_f32 v[146:147], v[4:5], v[146:147]                // 000000008640: D3B14092 18032504
	v_mul_f32_e32 v36, v36, v166                               // 000000008648: 0A494D24
	v_mov_b32_e32 v4, v36                                      // 00000000864C: 7E080324
	v_mov_b32_e32 v5, v4                                       // 000000008650: 7E0A0304
	v_pk_mul_f32 v[76:77], v[4:5], v[76:77]                    // 000000008654: D3B1404C 18029904
	v_pk_mul_f32 v[124:125], v[4:5], v[124:125]                // 00000000865C: D3B1407C 1802F904
	v_pk_mul_f32 v[78:79], v[4:5], v[78:79]                    // 000000008664: D3B1404E 18029D04
	v_pk_mul_f32 v[126:127], v[4:5], v[126:127]                // 00000000866C: D3B1407E 1802FD04
	v_pk_mul_f32 v[100:101], v[4:5], v[100:101]                // 000000008674: D3B14064 1802C904
	v_pk_mul_f32 v[148:149], v[4:5], v[148:149]                // 00000000867C: D3B14094 18032904
	v_pk_mul_f32 v[102:103], v[4:5], v[102:103]                // 000000008684: D3B14066 1802CD04
	v_pk_mul_f32 v[150:151], v[4:5], v[150:151]                // 00000000868C: D3B14096 18032D04
	v_mul_f32_e32 v37, v37, v167                               // 000000008694: 0A4B4F25
	v_mov_b32_e32 v4, v37                                      // 000000008698: 7E080325
	v_mov_b32_e32 v5, v4                                       // 00000000869C: 7E0A0304
	v_pk_mul_f32 v[80:81], v[4:5], v[80:81]                    // 0000000086A0: D3B14050 1802A104
	v_pk_mul_f32 v[128:129], v[4:5], v[128:129]                // 0000000086A8: D3B14080 18030104
	v_pk_mul_f32 v[82:83], v[4:5], v[82:83]                    // 0000000086B0: D3B14052 1802A504
	v_pk_mul_f32 v[130:131], v[4:5], v[130:131]                // 0000000086B8: D3B14082 18030504
	v_pk_mul_f32 v[104:105], v[4:5], v[104:105]                // 0000000086C0: D3B14068 1802D104
	v_pk_mul_f32 v[152:153], v[4:5], v[152:153]                // 0000000086C8: D3B14098 18033104
	v_pk_mul_f32 v[106:107], v[4:5], v[106:107]                // 0000000086D0: D3B1406A 1802D504
	v_pk_mul_f32 v[154:155], v[4:5], v[154:155]                // 0000000086D8: D3B1409A 18033504
	v_mul_f32_e32 v38, v38, v168                               // 0000000086E0: 0A4D5126
	v_mov_b32_e32 v4, v38                                      // 0000000086E4: 7E080326
	v_mov_b32_e32 v5, v4                                       // 0000000086E8: 7E0A0304
	v_pk_mul_f32 v[84:85], v[4:5], v[84:85]                    // 0000000086EC: D3B14054 1802A904
	v_pk_mul_f32 v[132:133], v[4:5], v[132:133]                // 0000000086F4: D3B14084 18030904
	v_pk_mul_f32 v[86:87], v[4:5], v[86:87]                    // 0000000086FC: D3B14056 1802AD04
	v_pk_mul_f32 v[134:135], v[4:5], v[134:135]                // 000000008704: D3B14086 18030D04
	v_pk_mul_f32 v[108:109], v[4:5], v[108:109]                // 00000000870C: D3B1406C 1802D904
	v_pk_mul_f32 v[156:157], v[4:5], v[156:157]                // 000000008714: D3B1409C 18033904
	v_pk_mul_f32 v[110:111], v[4:5], v[110:111]                // 00000000871C: D3B1406E 1802DD04
	v_pk_mul_f32 v[158:159], v[4:5], v[158:159]                // 000000008724: D3B1409E 18033D04
	v_mul_f32_e32 v39, v39, v169                               // 00000000872C: 0A4F5327
	v_mov_b32_e32 v4, v39                                      // 000000008730: 7E080327
	v_mov_b32_e32 v5, v4                                       // 000000008734: 7E0A0304
	v_pk_mul_f32 v[88:89], v[4:5], v[88:89]                    // 000000008738: D3B14058 1802B104
	v_pk_mul_f32 v[136:137], v[4:5], v[136:137]                // 000000008740: D3B14088 18031104
	v_pk_mul_f32 v[90:91], v[4:5], v[90:91]                    // 000000008748: D3B1405A 1802B504
	v_pk_mul_f32 v[138:139], v[4:5], v[138:139]                // 000000008750: D3B1408A 18031504
	v_pk_mul_f32 v[112:113], v[4:5], v[112:113]                // 000000008758: D3B14070 1802E104
	v_pk_mul_f32 v[160:161], v[4:5], v[160:161]                // 000000008760: D3B140A0 18034104
	v_pk_mul_f32 v[114:115], v[4:5], v[114:115]                // 000000008768: D3B14072 1802E504
	v_pk_mul_f32 v[162:163], v[4:5], v[162:163]                // 000000008770: D3B140A2 18034504
	s_cmp_eq_u32 s88, 0                                        // 000000008778: BF068058
	s_cbranch_scc0 label_1E74                                  // 00000000877C: BF840711
	s_cmp_eq_u32 s89, 0                                        // 000000008780: BF068059
	s_cbranch_scc1 label_194A                                  // 000000008784: BF8501E5
	v_mov_b32_e32 v8, v1                                       // 000000008788: 7E100301
	v_mov_b32_e32 v9, v1                                       // 00000000878C: 7E120301
	s_mov_b32 s60, s6                                          // 000000008790: BEBC0006
	s_mov_b32 s61, s6                                          // 000000008794: BEBD0006
	v_pk_mul_f32 v[4:5], v[68:69], v[68:69]                    // 000000008798: D3B14004 18028944
	v_pk_mul_f32 v[6:7], v[70:71], v[70:71]                    // 0000000087A0: D3B14006 18028D46
	v_pk_fma_f32 v[4:5], v[4:5], s[78:79], v[8:9]              // 0000000087A8: D3B04004 1C209D04
	v_pk_fma_f32 v[6:7], v[6:7], s[78:79], v[8:9]              // 0000000087B0: D3B04006 1C209D06
	v_pk_mul_f32 v[4:5], v[4:5], v[68:69]                      // 0000000087B8: D3B14004 18028904
	v_pk_mul_f32 v[6:7], v[6:7], v[70:71]                      // 0000000087C0: D3B14006 18028D06
	v_pk_mul_f32 v[4:5], v[4:5], s[60:61]                      // 0000000087C8: D3B14004 18007904
	v_pk_mul_f32 v[6:7], v[6:7], s[60:61]                      // 0000000087D0: D3B14006 18007906
	v_exp_f32_e32 v4, v4                                       // 0000000087D8: 7E084104
	v_exp_f32_e32 v5, v5                                       // 0000000087DC: 7E0A4105
	v_exp_f32_e32 v6, v6                                       // 0000000087E0: 7E0C4106
	v_exp_f32_e32 v7, v7                                       // 0000000087E4: 7E0E4107
	v_add_f32_e64 v4, v4, 1.0                                  // 0000000087E8: D1010004 0001E504
	v_add_f32_e64 v5, v5, 1.0                                  // 0000000087F0: D1010005 0001E505
	v_add_f32_e64 v6, v6, 1.0                                  // 0000000087F8: D1010006 0001E506
	v_add_f32_e64 v7, v7, 1.0                                  // 000000008800: D1010007 0001E507
	v_rcp_f32_e32 v4, v4                                       // 000000008808: 7E084504
	v_rcp_f32_e32 v5, v5                                       // 00000000880C: 7E0A4505
	v_rcp_f32_e32 v6, v6                                       // 000000008810: 7E0C4506
	v_rcp_f32_e32 v7, v7                                       // 000000008814: 7E0E4507
	v_mul_f32_e32 v68, v68, v4                                 // 000000008818: 0A880944
	v_mul_f32_e32 v69, v69, v5                                 // 00000000881C: 0A8A0B45
	v_mul_f32_e32 v70, v70, v6                                 // 000000008820: 0A8C0D46
	v_mul_f32_e32 v71, v71, v7                                 // 000000008824: 0A8E0F47
	v_mul_f32_e32 v68, v68, v116                               // 000000008828: 0A88E944
	v_mul_f32_e32 v69, v69, v117                               // 00000000882C: 0A8AEB45
	v_mul_f32_e32 v70, v70, v118                               // 000000008830: 0A8CED46
	v_mul_f32_e32 v71, v71, v119                               // 000000008834: 0A8EEF47
	v_pk_mul_f32 v[4:5], v[72:73], v[72:73]                    // 000000008838: D3B14004 18029148
	v_pk_mul_f32 v[6:7], v[74:75], v[74:75]                    // 000000008840: D3B14006 1802954A
	v_pk_fma_f32 v[4:5], v[4:5], s[78:79], v[8:9]              // 000000008848: D3B04004 1C209D04
	v_pk_fma_f32 v[6:7], v[6:7], s[78:79], v[8:9]              // 000000008850: D3B04006 1C209D06
	v_pk_mul_f32 v[4:5], v[4:5], v[72:73]                      // 000000008858: D3B14004 18029104
	v_pk_mul_f32 v[6:7], v[6:7], v[74:75]                      // 000000008860: D3B14006 18029506
	v_pk_mul_f32 v[4:5], v[4:5], s[60:61]                      // 000000008868: D3B14004 18007904
	v_pk_mul_f32 v[6:7], v[6:7], s[60:61]                      // 000000008870: D3B14006 18007906
	v_exp_f32_e32 v4, v4                                       // 000000008878: 7E084104
	v_exp_f32_e32 v5, v5                                       // 00000000887C: 7E0A4105
	v_exp_f32_e32 v6, v6                                       // 000000008880: 7E0C4106
	v_exp_f32_e32 v7, v7                                       // 000000008884: 7E0E4107
	v_add_f32_e64 v4, v4, 1.0                                  // 000000008888: D1010004 0001E504
	v_add_f32_e64 v5, v5, 1.0                                  // 000000008890: D1010005 0001E505
	v_add_f32_e64 v6, v6, 1.0                                  // 000000008898: D1010006 0001E506
	v_add_f32_e64 v7, v7, 1.0                                  // 0000000088A0: D1010007 0001E507
	v_rcp_f32_e32 v4, v4                                       // 0000000088A8: 7E084504
	v_rcp_f32_e32 v5, v5                                       // 0000000088AC: 7E0A4505
	v_rcp_f32_e32 v6, v6                                       // 0000000088B0: 7E0C4506
	v_rcp_f32_e32 v7, v7                                       // 0000000088B4: 7E0E4507
	v_mul_f32_e32 v72, v72, v4                                 // 0000000088B8: 0A900948
	v_mul_f32_e32 v73, v73, v5                                 // 0000000088BC: 0A920B49
	v_mul_f32_e32 v74, v74, v6                                 // 0000000088C0: 0A940D4A
	v_mul_f32_e32 v75, v75, v7                                 // 0000000088C4: 0A960F4B
	v_mul_f32_e32 v72, v72, v120                               // 0000000088C8: 0A90F148
	v_mul_f32_e32 v73, v73, v121                               // 0000000088CC: 0A92F349
	v_mul_f32_e32 v74, v74, v122                               // 0000000088D0: 0A94F54A
	v_mul_f32_e32 v75, v75, v123                               // 0000000088D4: 0A96F74B
	v_pk_mul_f32 v[4:5], v[76:77], v[76:77]                    // 0000000088D8: D3B14004 1802994C
	v_pk_mul_f32 v[6:7], v[78:79], v[78:79]                    // 0000000088E0: D3B14006 18029D4E
	v_pk_fma_f32 v[4:5], v[4:5], s[78:79], v[8:9]              // 0000000088E8: D3B04004 1C209D04
	v_pk_fma_f32 v[6:7], v[6:7], s[78:79], v[8:9]              // 0000000088F0: D3B04006 1C209D06
	v_pk_mul_f32 v[4:5], v[4:5], v[76:77]                      // 0000000088F8: D3B14004 18029904
	v_pk_mul_f32 v[6:7], v[6:7], v[78:79]                      // 000000008900: D3B14006 18029D06
	v_pk_mul_f32 v[4:5], v[4:5], s[60:61]                      // 000000008908: D3B14004 18007904
	v_pk_mul_f32 v[6:7], v[6:7], s[60:61]                      // 000000008910: D3B14006 18007906
	v_exp_f32_e32 v4, v4                                       // 000000008918: 7E084104
	v_exp_f32_e32 v5, v5                                       // 00000000891C: 7E0A4105
	v_exp_f32_e32 v6, v6                                       // 000000008920: 7E0C4106
	v_exp_f32_e32 v7, v7                                       // 000000008924: 7E0E4107
	v_add_f32_e64 v4, v4, 1.0                                  // 000000008928: D1010004 0001E504
	v_add_f32_e64 v5, v5, 1.0                                  // 000000008930: D1010005 0001E505
	v_add_f32_e64 v6, v6, 1.0                                  // 000000008938: D1010006 0001E506
	v_add_f32_e64 v7, v7, 1.0                                  // 000000008940: D1010007 0001E507
	v_rcp_f32_e32 v4, v4                                       // 000000008948: 7E084504
	v_rcp_f32_e32 v5, v5                                       // 00000000894C: 7E0A4505
	v_rcp_f32_e32 v6, v6                                       // 000000008950: 7E0C4506
	v_rcp_f32_e32 v7, v7                                       // 000000008954: 7E0E4507
	v_mul_f32_e32 v76, v76, v4                                 // 000000008958: 0A98094C
	v_mul_f32_e32 v77, v77, v5                                 // 00000000895C: 0A9A0B4D
	v_mul_f32_e32 v78, v78, v6                                 // 000000008960: 0A9C0D4E
	v_mul_f32_e32 v79, v79, v7                                 // 000000008964: 0A9E0F4F
	v_mul_f32_e32 v76, v76, v124                               // 000000008968: 0A98F94C
	v_mul_f32_e32 v77, v77, v125                               // 00000000896C: 0A9AFB4D
	v_mul_f32_e32 v78, v78, v126                               // 000000008970: 0A9CFD4E
	v_mul_f32_e32 v79, v79, v127                               // 000000008974: 0A9EFF4F
	v_pk_mul_f32 v[4:5], v[80:81], v[80:81]                    // 000000008978: D3B14004 1802A150
	v_pk_mul_f32 v[6:7], v[82:83], v[82:83]                    // 000000008980: D3B14006 1802A552
	v_pk_fma_f32 v[4:5], v[4:5], s[78:79], v[8:9]              // 000000008988: D3B04004 1C209D04
	v_pk_fma_f32 v[6:7], v[6:7], s[78:79], v[8:9]              // 000000008990: D3B04006 1C209D06
	v_pk_mul_f32 v[4:5], v[4:5], v[80:81]                      // 000000008998: D3B14004 1802A104
	v_pk_mul_f32 v[6:7], v[6:7], v[82:83]                      // 0000000089A0: D3B14006 1802A506
	v_pk_mul_f32 v[4:5], v[4:5], s[60:61]                      // 0000000089A8: D3B14004 18007904
	v_pk_mul_f32 v[6:7], v[6:7], s[60:61]                      // 0000000089B0: D3B14006 18007906
	v_exp_f32_e32 v4, v4                                       // 0000000089B8: 7E084104
	v_exp_f32_e32 v5, v5                                       // 0000000089BC: 7E0A4105
	v_exp_f32_e32 v6, v6                                       // 0000000089C0: 7E0C4106
	v_exp_f32_e32 v7, v7                                       // 0000000089C4: 7E0E4107
	v_add_f32_e64 v4, v4, 1.0                                  // 0000000089C8: D1010004 0001E504
	v_add_f32_e64 v5, v5, 1.0                                  // 0000000089D0: D1010005 0001E505
	v_add_f32_e64 v6, v6, 1.0                                  // 0000000089D8: D1010006 0001E506
	v_add_f32_e64 v7, v7, 1.0                                  // 0000000089E0: D1010007 0001E507
	v_rcp_f32_e32 v4, v4                                       // 0000000089E8: 7E084504
	v_rcp_f32_e32 v5, v5                                       // 0000000089EC: 7E0A4505
	v_rcp_f32_e32 v6, v6                                       // 0000000089F0: 7E0C4506
	v_rcp_f32_e32 v7, v7                                       // 0000000089F4: 7E0E4507
	v_mul_f32_e32 v80, v80, v4                                 // 0000000089F8: 0AA00950
	v_mul_f32_e32 v81, v81, v5                                 // 0000000089FC: 0AA20B51
	v_mul_f32_e32 v82, v82, v6                                 // 000000008A00: 0AA40D52
	v_mul_f32_e32 v83, v83, v7                                 // 000000008A04: 0AA60F53
	v_mul_f32_e32 v80, v80, v128                               // 000000008A08: 0AA10150
	v_mul_f32_e32 v81, v81, v129                               // 000000008A0C: 0AA30351
	v_mul_f32_e32 v82, v82, v130                               // 000000008A10: 0AA50552
	v_mul_f32_e32 v83, v83, v131                               // 000000008A14: 0AA70753
	v_pk_mul_f32 v[4:5], v[84:85], v[84:85]                    // 000000008A18: D3B14004 1802A954
	v_pk_mul_f32 v[6:7], v[86:87], v[86:87]                    // 000000008A20: D3B14006 1802AD56
	v_pk_fma_f32 v[4:5], v[4:5], s[78:79], v[8:9]              // 000000008A28: D3B04004 1C209D04
	v_pk_fma_f32 v[6:7], v[6:7], s[78:79], v[8:9]              // 000000008A30: D3B04006 1C209D06
	v_pk_mul_f32 v[4:5], v[4:5], v[84:85]                      // 000000008A38: D3B14004 1802A904
	v_pk_mul_f32 v[6:7], v[6:7], v[86:87]                      // 000000008A40: D3B14006 1802AD06
	v_pk_mul_f32 v[4:5], v[4:5], s[60:61]                      // 000000008A48: D3B14004 18007904
	v_pk_mul_f32 v[6:7], v[6:7], s[60:61]                      // 000000008A50: D3B14006 18007906
	v_exp_f32_e32 v4, v4                                       // 000000008A58: 7E084104
	v_exp_f32_e32 v5, v5                                       // 000000008A5C: 7E0A4105
	v_exp_f32_e32 v6, v6                                       // 000000008A60: 7E0C4106
	v_exp_f32_e32 v7, v7                                       // 000000008A64: 7E0E4107
	v_add_f32_e64 v4, v4, 1.0                                  // 000000008A68: D1010004 0001E504
	v_add_f32_e64 v5, v5, 1.0                                  // 000000008A70: D1010005 0001E505
	v_add_f32_e64 v6, v6, 1.0                                  // 000000008A78: D1010006 0001E506
	v_add_f32_e64 v7, v7, 1.0                                  // 000000008A80: D1010007 0001E507
	v_rcp_f32_e32 v4, v4                                       // 000000008A88: 7E084504
	v_rcp_f32_e32 v5, v5                                       // 000000008A8C: 7E0A4505
	v_rcp_f32_e32 v6, v6                                       // 000000008A90: 7E0C4506
	v_rcp_f32_e32 v7, v7                                       // 000000008A94: 7E0E4507
	v_mul_f32_e32 v84, v84, v4                                 // 000000008A98: 0AA80954
	v_mul_f32_e32 v85, v85, v5                                 // 000000008A9C: 0AAA0B55
	v_mul_f32_e32 v86, v86, v6                                 // 000000008AA0: 0AAC0D56
	v_mul_f32_e32 v87, v87, v7                                 // 000000008AA4: 0AAE0F57
	v_mul_f32_e32 v84, v84, v132                               // 000000008AA8: 0AA90954
	v_mul_f32_e32 v85, v85, v133                               // 000000008AAC: 0AAB0B55
	v_mul_f32_e32 v86, v86, v134                               // 000000008AB0: 0AAD0D56
	v_mul_f32_e32 v87, v87, v135                               // 000000008AB4: 0AAF0F57
	v_pk_mul_f32 v[4:5], v[88:89], v[88:89]                    // 000000008AB8: D3B14004 1802B158
	v_pk_mul_f32 v[6:7], v[90:91], v[90:91]                    // 000000008AC0: D3B14006 1802B55A
	v_pk_fma_f32 v[4:5], v[4:5], s[78:79], v[8:9]              // 000000008AC8: D3B04004 1C209D04
	v_pk_fma_f32 v[6:7], v[6:7], s[78:79], v[8:9]              // 000000008AD0: D3B04006 1C209D06
	v_pk_mul_f32 v[4:5], v[4:5], v[88:89]                      // 000000008AD8: D3B14004 1802B104
	v_pk_mul_f32 v[6:7], v[6:7], v[90:91]                      // 000000008AE0: D3B14006 1802B506
	v_pk_mul_f32 v[4:5], v[4:5], s[60:61]                      // 000000008AE8: D3B14004 18007904
	v_pk_mul_f32 v[6:7], v[6:7], s[60:61]                      // 000000008AF0: D3B14006 18007906
	v_exp_f32_e32 v4, v4                                       // 000000008AF8: 7E084104
	v_exp_f32_e32 v5, v5                                       // 000000008AFC: 7E0A4105
	v_exp_f32_e32 v6, v6                                       // 000000008B00: 7E0C4106
	v_exp_f32_e32 v7, v7                                       // 000000008B04: 7E0E4107
	v_add_f32_e64 v4, v4, 1.0                                  // 000000008B08: D1010004 0001E504
	v_add_f32_e64 v5, v5, 1.0                                  // 000000008B10: D1010005 0001E505
	v_add_f32_e64 v6, v6, 1.0                                  // 000000008B18: D1010006 0001E506
	v_add_f32_e64 v7, v7, 1.0                                  // 000000008B20: D1010007 0001E507
	v_rcp_f32_e32 v4, v4                                       // 000000008B28: 7E084504
	v_rcp_f32_e32 v5, v5                                       // 000000008B2C: 7E0A4505
	v_rcp_f32_e32 v6, v6                                       // 000000008B30: 7E0C4506
	v_rcp_f32_e32 v7, v7                                       // 000000008B34: 7E0E4507
	v_mul_f32_e32 v88, v88, v4                                 // 000000008B38: 0AB00958
	v_mul_f32_e32 v89, v89, v5                                 // 000000008B3C: 0AB20B59
	v_mul_f32_e32 v90, v90, v6                                 // 000000008B40: 0AB40D5A
	v_mul_f32_e32 v91, v91, v7                                 // 000000008B44: 0AB60F5B
	v_mul_f32_e32 v88, v88, v136                               // 000000008B48: 0AB11158
	v_mul_f32_e32 v89, v89, v137                               // 000000008B4C: 0AB31359
	v_mul_f32_e32 v90, v90, v138                               // 000000008B50: 0AB5155A
	v_mul_f32_e32 v91, v91, v139                               // 000000008B54: 0AB7175B
	v_pk_mul_f32 v[4:5], v[92:93], v[92:93]                    // 000000008B58: D3B14004 1802B95C
	v_pk_mul_f32 v[6:7], v[94:95], v[94:95]                    // 000000008B60: D3B14006 1802BD5E
	v_pk_fma_f32 v[4:5], v[4:5], s[78:79], v[8:9]              // 000000008B68: D3B04004 1C209D04
	v_pk_fma_f32 v[6:7], v[6:7], s[78:79], v[8:9]              // 000000008B70: D3B04006 1C209D06
	v_pk_mul_f32 v[4:5], v[4:5], v[92:93]                      // 000000008B78: D3B14004 1802B904
	v_pk_mul_f32 v[6:7], v[6:7], v[94:95]                      // 000000008B80: D3B14006 1802BD06
	v_pk_mul_f32 v[4:5], v[4:5], s[60:61]                      // 000000008B88: D3B14004 18007904
	v_pk_mul_f32 v[6:7], v[6:7], s[60:61]                      // 000000008B90: D3B14006 18007906
	v_exp_f32_e32 v4, v4                                       // 000000008B98: 7E084104
	v_exp_f32_e32 v5, v5                                       // 000000008B9C: 7E0A4105
	v_exp_f32_e32 v6, v6                                       // 000000008BA0: 7E0C4106
	v_exp_f32_e32 v7, v7                                       // 000000008BA4: 7E0E4107
	v_add_f32_e64 v4, v4, 1.0                                  // 000000008BA8: D1010004 0001E504
	v_add_f32_e64 v5, v5, 1.0                                  // 000000008BB0: D1010005 0001E505
	v_add_f32_e64 v6, v6, 1.0                                  // 000000008BB8: D1010006 0001E506
	v_add_f32_e64 v7, v7, 1.0                                  // 000000008BC0: D1010007 0001E507
	v_rcp_f32_e32 v4, v4                                       // 000000008BC8: 7E084504
	v_rcp_f32_e32 v5, v5                                       // 000000008BCC: 7E0A4505
	v_rcp_f32_e32 v6, v6                                       // 000000008BD0: 7E0C4506
	v_rcp_f32_e32 v7, v7                                       // 000000008BD4: 7E0E4507
	v_mul_f32_e32 v92, v92, v4                                 // 000000008BD8: 0AB8095C
	v_mul_f32_e32 v93, v93, v5                                 // 000000008BDC: 0ABA0B5D
	v_mul_f32_e32 v94, v94, v6                                 // 000000008BE0: 0ABC0D5E
	v_mul_f32_e32 v95, v95, v7                                 // 000000008BE4: 0ABE0F5F
	v_mul_f32_e32 v92, v92, v140                               // 000000008BE8: 0AB9195C
	v_mul_f32_e32 v93, v93, v141                               // 000000008BEC: 0ABB1B5D
	v_mul_f32_e32 v94, v94, v142                               // 000000008BF0: 0ABD1D5E
	v_mul_f32_e32 v95, v95, v143                               // 000000008BF4: 0ABF1F5F
	v_pk_mul_f32 v[4:5], v[96:97], v[96:97]                    // 000000008BF8: D3B14004 1802C160
	v_pk_mul_f32 v[6:7], v[98:99], v[98:99]                    // 000000008C00: D3B14006 1802C562
	v_pk_fma_f32 v[4:5], v[4:5], s[78:79], v[8:9]              // 000000008C08: D3B04004 1C209D04
	v_pk_fma_f32 v[6:7], v[6:7], s[78:79], v[8:9]              // 000000008C10: D3B04006 1C209D06
	v_pk_mul_f32 v[4:5], v[4:5], v[96:97]                      // 000000008C18: D3B14004 1802C104
	v_pk_mul_f32 v[6:7], v[6:7], v[98:99]                      // 000000008C20: D3B14006 1802C506
	v_pk_mul_f32 v[4:5], v[4:5], s[60:61]                      // 000000008C28: D3B14004 18007904
	v_pk_mul_f32 v[6:7], v[6:7], s[60:61]                      // 000000008C30: D3B14006 18007906
	v_exp_f32_e32 v4, v4                                       // 000000008C38: 7E084104
	v_exp_f32_e32 v5, v5                                       // 000000008C3C: 7E0A4105
	v_exp_f32_e32 v6, v6                                       // 000000008C40: 7E0C4106
	v_exp_f32_e32 v7, v7                                       // 000000008C44: 7E0E4107
	v_add_f32_e64 v4, v4, 1.0                                  // 000000008C48: D1010004 0001E504
	v_add_f32_e64 v5, v5, 1.0                                  // 000000008C50: D1010005 0001E505
	v_add_f32_e64 v6, v6, 1.0                                  // 000000008C58: D1010006 0001E506
	v_add_f32_e64 v7, v7, 1.0                                  // 000000008C60: D1010007 0001E507
	v_rcp_f32_e32 v4, v4                                       // 000000008C68: 7E084504
	v_rcp_f32_e32 v5, v5                                       // 000000008C6C: 7E0A4505
	v_rcp_f32_e32 v6, v6                                       // 000000008C70: 7E0C4506
	v_rcp_f32_e32 v7, v7                                       // 000000008C74: 7E0E4507
	v_mul_f32_e32 v96, v96, v4                                 // 000000008C78: 0AC00960
	v_mul_f32_e32 v97, v97, v5                                 // 000000008C7C: 0AC20B61
	v_mul_f32_e32 v98, v98, v6                                 // 000000008C80: 0AC40D62
	v_mul_f32_e32 v99, v99, v7                                 // 000000008C84: 0AC60F63
	v_mul_f32_e32 v96, v96, v144                               // 000000008C88: 0AC12160
	v_mul_f32_e32 v97, v97, v145                               // 000000008C8C: 0AC32361
	v_mul_f32_e32 v98, v98, v146                               // 000000008C90: 0AC52562
	v_mul_f32_e32 v99, v99, v147                               // 000000008C94: 0AC72763
	v_pk_mul_f32 v[4:5], v[100:101], v[100:101]                // 000000008C98: D3B14004 1802C964
	v_pk_mul_f32 v[6:7], v[102:103], v[102:103]                // 000000008CA0: D3B14006 1802CD66
	v_pk_fma_f32 v[4:5], v[4:5], s[78:79], v[8:9]              // 000000008CA8: D3B04004 1C209D04
	v_pk_fma_f32 v[6:7], v[6:7], s[78:79], v[8:9]              // 000000008CB0: D3B04006 1C209D06
	v_pk_mul_f32 v[4:5], v[4:5], v[100:101]                    // 000000008CB8: D3B14004 1802C904
	v_pk_mul_f32 v[6:7], v[6:7], v[102:103]                    // 000000008CC0: D3B14006 1802CD06
	v_pk_mul_f32 v[4:5], v[4:5], s[60:61]                      // 000000008CC8: D3B14004 18007904
	v_pk_mul_f32 v[6:7], v[6:7], s[60:61]                      // 000000008CD0: D3B14006 18007906
	v_exp_f32_e32 v4, v4                                       // 000000008CD8: 7E084104
	v_exp_f32_e32 v5, v5                                       // 000000008CDC: 7E0A4105
	v_exp_f32_e32 v6, v6                                       // 000000008CE0: 7E0C4106
	v_exp_f32_e32 v7, v7                                       // 000000008CE4: 7E0E4107
	v_add_f32_e64 v4, v4, 1.0                                  // 000000008CE8: D1010004 0001E504
	v_add_f32_e64 v5, v5, 1.0                                  // 000000008CF0: D1010005 0001E505
	v_add_f32_e64 v6, v6, 1.0                                  // 000000008CF8: D1010006 0001E506
	v_add_f32_e64 v7, v7, 1.0                                  // 000000008D00: D1010007 0001E507
	v_rcp_f32_e32 v4, v4                                       // 000000008D08: 7E084504
	v_rcp_f32_e32 v5, v5                                       // 000000008D0C: 7E0A4505
	v_rcp_f32_e32 v6, v6                                       // 000000008D10: 7E0C4506
	v_rcp_f32_e32 v7, v7                                       // 000000008D14: 7E0E4507
	v_mul_f32_e32 v100, v100, v4                               // 000000008D18: 0AC80964
	v_mul_f32_e32 v101, v101, v5                               // 000000008D1C: 0ACA0B65
	v_mul_f32_e32 v102, v102, v6                               // 000000008D20: 0ACC0D66
	v_mul_f32_e32 v103, v103, v7                               // 000000008D24: 0ACE0F67
	v_mul_f32_e32 v100, v100, v148                             // 000000008D28: 0AC92964
	v_mul_f32_e32 v101, v101, v149                             // 000000008D2C: 0ACB2B65
	v_mul_f32_e32 v102, v102, v150                             // 000000008D30: 0ACD2D66
	v_mul_f32_e32 v103, v103, v151                             // 000000008D34: 0ACF2F67
	v_pk_mul_f32 v[4:5], v[104:105], v[104:105]                // 000000008D38: D3B14004 1802D168
	v_pk_mul_f32 v[6:7], v[106:107], v[106:107]                // 000000008D40: D3B14006 1802D56A
	v_pk_fma_f32 v[4:5], v[4:5], s[78:79], v[8:9]              // 000000008D48: D3B04004 1C209D04
	v_pk_fma_f32 v[6:7], v[6:7], s[78:79], v[8:9]              // 000000008D50: D3B04006 1C209D06
	v_pk_mul_f32 v[4:5], v[4:5], v[104:105]                    // 000000008D58: D3B14004 1802D104
	v_pk_mul_f32 v[6:7], v[6:7], v[106:107]                    // 000000008D60: D3B14006 1802D506
	v_pk_mul_f32 v[4:5], v[4:5], s[60:61]                      // 000000008D68: D3B14004 18007904
	v_pk_mul_f32 v[6:7], v[6:7], s[60:61]                      // 000000008D70: D3B14006 18007906
	v_exp_f32_e32 v4, v4                                       // 000000008D78: 7E084104
	v_exp_f32_e32 v5, v5                                       // 000000008D7C: 7E0A4105
	v_exp_f32_e32 v6, v6                                       // 000000008D80: 7E0C4106
	v_exp_f32_e32 v7, v7                                       // 000000008D84: 7E0E4107
	v_add_f32_e64 v4, v4, 1.0                                  // 000000008D88: D1010004 0001E504
	v_add_f32_e64 v5, v5, 1.0                                  // 000000008D90: D1010005 0001E505
	v_add_f32_e64 v6, v6, 1.0                                  // 000000008D98: D1010006 0001E506
	v_add_f32_e64 v7, v7, 1.0                                  // 000000008DA0: D1010007 0001E507
	v_rcp_f32_e32 v4, v4                                       // 000000008DA8: 7E084504
	v_rcp_f32_e32 v5, v5                                       // 000000008DAC: 7E0A4505
	v_rcp_f32_e32 v6, v6                                       // 000000008DB0: 7E0C4506
	v_rcp_f32_e32 v7, v7                                       // 000000008DB4: 7E0E4507
	v_mul_f32_e32 v104, v104, v4                               // 000000008DB8: 0AD00968
	v_mul_f32_e32 v105, v105, v5                               // 000000008DBC: 0AD20B69
	v_mul_f32_e32 v106, v106, v6                               // 000000008DC0: 0AD40D6A
	v_mul_f32_e32 v107, v107, v7                               // 000000008DC4: 0AD60F6B
	v_mul_f32_e32 v104, v104, v152                             // 000000008DC8: 0AD13168
	v_mul_f32_e32 v105, v105, v153                             // 000000008DCC: 0AD33369
	v_mul_f32_e32 v106, v106, v154                             // 000000008DD0: 0AD5356A
	v_mul_f32_e32 v107, v107, v155                             // 000000008DD4: 0AD7376B
	v_pk_mul_f32 v[4:5], v[108:109], v[108:109]                // 000000008DD8: D3B14004 1802D96C
	v_pk_mul_f32 v[6:7], v[110:111], v[110:111]                // 000000008DE0: D3B14006 1802DD6E
	v_pk_fma_f32 v[4:5], v[4:5], s[78:79], v[8:9]              // 000000008DE8: D3B04004 1C209D04
	v_pk_fma_f32 v[6:7], v[6:7], s[78:79], v[8:9]              // 000000008DF0: D3B04006 1C209D06
	v_pk_mul_f32 v[4:5], v[4:5], v[108:109]                    // 000000008DF8: D3B14004 1802D904
	v_pk_mul_f32 v[6:7], v[6:7], v[110:111]                    // 000000008E00: D3B14006 1802DD06
	v_pk_mul_f32 v[4:5], v[4:5], s[60:61]                      // 000000008E08: D3B14004 18007904
	v_pk_mul_f32 v[6:7], v[6:7], s[60:61]                      // 000000008E10: D3B14006 18007906
	v_exp_f32_e32 v4, v4                                       // 000000008E18: 7E084104
	v_exp_f32_e32 v5, v5                                       // 000000008E1C: 7E0A4105
	v_exp_f32_e32 v6, v6                                       // 000000008E20: 7E0C4106
	v_exp_f32_e32 v7, v7                                       // 000000008E24: 7E0E4107
	v_add_f32_e64 v4, v4, 1.0                                  // 000000008E28: D1010004 0001E504
	v_add_f32_e64 v5, v5, 1.0                                  // 000000008E30: D1010005 0001E505
	v_add_f32_e64 v6, v6, 1.0                                  // 000000008E38: D1010006 0001E506
	v_add_f32_e64 v7, v7, 1.0                                  // 000000008E40: D1010007 0001E507
	v_rcp_f32_e32 v4, v4                                       // 000000008E48: 7E084504
	v_rcp_f32_e32 v5, v5                                       // 000000008E4C: 7E0A4505
	v_rcp_f32_e32 v6, v6                                       // 000000008E50: 7E0C4506
	v_rcp_f32_e32 v7, v7                                       // 000000008E54: 7E0E4507
	v_mul_f32_e32 v108, v108, v4                               // 000000008E58: 0AD8096C
	v_mul_f32_e32 v109, v109, v5                               // 000000008E5C: 0ADA0B6D
	v_mul_f32_e32 v110, v110, v6                               // 000000008E60: 0ADC0D6E
	v_mul_f32_e32 v111, v111, v7                               // 000000008E64: 0ADE0F6F
	v_mul_f32_e32 v108, v108, v156                             // 000000008E68: 0AD9396C
	v_mul_f32_e32 v109, v109, v157                             // 000000008E6C: 0ADB3B6D
	v_mul_f32_e32 v110, v110, v158                             // 000000008E70: 0ADD3D6E
	v_mul_f32_e32 v111, v111, v159                             // 000000008E74: 0ADF3F6F
	v_pk_mul_f32 v[4:5], v[112:113], v[112:113]                // 000000008E78: D3B14004 1802E170
	v_pk_mul_f32 v[6:7], v[114:115], v[114:115]                // 000000008E80: D3B14006 1802E572
	v_pk_fma_f32 v[4:5], v[4:5], s[78:79], v[8:9]              // 000000008E88: D3B04004 1C209D04
	v_pk_fma_f32 v[6:7], v[6:7], s[78:79], v[8:9]              // 000000008E90: D3B04006 1C209D06
	v_pk_mul_f32 v[4:5], v[4:5], v[112:113]                    // 000000008E98: D3B14004 1802E104
	v_pk_mul_f32 v[6:7], v[6:7], v[114:115]                    // 000000008EA0: D3B14006 1802E506
	v_pk_mul_f32 v[4:5], v[4:5], s[60:61]                      // 000000008EA8: D3B14004 18007904
	v_pk_mul_f32 v[6:7], v[6:7], s[60:61]                      // 000000008EB0: D3B14006 18007906
	v_exp_f32_e32 v4, v4                                       // 000000008EB8: 7E084104
	v_exp_f32_e32 v5, v5                                       // 000000008EBC: 7E0A4105
	v_exp_f32_e32 v6, v6                                       // 000000008EC0: 7E0C4106
	v_exp_f32_e32 v7, v7                                       // 000000008EC4: 7E0E4107
	v_add_f32_e64 v4, v4, 1.0                                  // 000000008EC8: D1010004 0001E504
	v_add_f32_e64 v5, v5, 1.0                                  // 000000008ED0: D1010005 0001E505
	v_add_f32_e64 v6, v6, 1.0                                  // 000000008ED8: D1010006 0001E506
	v_add_f32_e64 v7, v7, 1.0                                  // 000000008EE0: D1010007 0001E507
	v_rcp_f32_e32 v4, v4                                       // 000000008EE8: 7E084504
	v_rcp_f32_e32 v5, v5                                       // 000000008EEC: 7E0A4505
	v_rcp_f32_e32 v6, v6                                       // 000000008EF0: 7E0C4506
	v_rcp_f32_e32 v7, v7                                       // 000000008EF4: 7E0E4507
	v_mul_f32_e32 v112, v112, v4                               // 000000008EF8: 0AE00970
	v_mul_f32_e32 v113, v113, v5                               // 000000008EFC: 0AE20B71
	v_mul_f32_e32 v114, v114, v6                               // 000000008F00: 0AE40D72
	v_mul_f32_e32 v115, v115, v7                               // 000000008F04: 0AE60F73
	v_mul_f32_e32 v112, v112, v160                             // 000000008F08: 0AE14170
	v_mul_f32_e32 v113, v113, v161                             // 000000008F0C: 0AE34371
	v_mul_f32_e32 v114, v114, v162                             // 000000008F10: 0AE54572
	v_mul_f32_e32 v115, v115, v163                             // 000000008F14: 0AE74773
	s_branch label_1ACA                                        // 000000008F18: BF820180

0000000000008f1c <label_194A>:
	v_mul_f32_e64 v4, -v68, s6                                 // 000000008F1C: D1050004 20000D44
	v_mul_f32_e64 v5, -v69, s6                                 // 000000008F24: D1050005 20000D45
	v_mul_f32_e64 v6, -v70, s6                                 // 000000008F2C: D1050006 20000D46
	v_mul_f32_e64 v7, -v71, s6                                 // 000000008F34: D1050007 20000D47
	v_exp_f32_e32 v4, v4                                       // 000000008F3C: 7E084104
	v_exp_f32_e32 v5, v5                                       // 000000008F40: 7E0A4105
	v_exp_f32_e32 v6, v6                                       // 000000008F44: 7E0C4106
	v_exp_f32_e32 v7, v7                                       // 000000008F48: 7E0E4107
	v_add_f32_e64 v4, v4, 1.0                                  // 000000008F4C: D1010004 0001E504
	v_add_f32_e64 v5, v5, 1.0                                  // 000000008F54: D1010005 0001E505
	v_add_f32_e64 v6, v6, 1.0                                  // 000000008F5C: D1010006 0001E506
	v_add_f32_e64 v7, v7, 1.0                                  // 000000008F64: D1010007 0001E507
	v_rcp_f32_e32 v4, v4                                       // 000000008F6C: 7E084504
	v_rcp_f32_e32 v5, v5                                       // 000000008F70: 7E0A4505
	v_rcp_f32_e32 v6, v6                                       // 000000008F74: 7E0C4506
	v_rcp_f32_e32 v7, v7                                       // 000000008F78: 7E0E4507
	v_mul_f32_e32 v68, v68, v4                                 // 000000008F7C: 0A880944
	v_mul_f32_e32 v69, v69, v5                                 // 000000008F80: 0A8A0B45
	v_mul_f32_e32 v70, v70, v6                                 // 000000008F84: 0A8C0D46
	v_mul_f32_e32 v71, v71, v7                                 // 000000008F88: 0A8E0F47
	v_mul_f32_e32 v68, v68, v116                               // 000000008F8C: 0A88E944
	v_mul_f32_e32 v69, v69, v117                               // 000000008F90: 0A8AEB45
	v_mul_f32_e32 v70, v70, v118                               // 000000008F94: 0A8CED46
	v_mul_f32_e32 v71, v71, v119                               // 000000008F98: 0A8EEF47
	v_mul_f32_e64 v4, -v72, s6                                 // 000000008F9C: D1050004 20000D48
	v_mul_f32_e64 v5, -v73, s6                                 // 000000008FA4: D1050005 20000D49
	v_mul_f32_e64 v6, -v74, s6                                 // 000000008FAC: D1050006 20000D4A
	v_mul_f32_e64 v7, -v75, s6                                 // 000000008FB4: D1050007 20000D4B
	v_exp_f32_e32 v4, v4                                       // 000000008FBC: 7E084104
	v_exp_f32_e32 v5, v5                                       // 000000008FC0: 7E0A4105
	v_exp_f32_e32 v6, v6                                       // 000000008FC4: 7E0C4106
	v_exp_f32_e32 v7, v7                                       // 000000008FC8: 7E0E4107
	v_add_f32_e64 v4, v4, 1.0                                  // 000000008FCC: D1010004 0001E504
	v_add_f32_e64 v5, v5, 1.0                                  // 000000008FD4: D1010005 0001E505
	v_add_f32_e64 v6, v6, 1.0                                  // 000000008FDC: D1010006 0001E506
	v_add_f32_e64 v7, v7, 1.0                                  // 000000008FE4: D1010007 0001E507
	v_rcp_f32_e32 v4, v4                                       // 000000008FEC: 7E084504
	v_rcp_f32_e32 v5, v5                                       // 000000008FF0: 7E0A4505
	v_rcp_f32_e32 v6, v6                                       // 000000008FF4: 7E0C4506
	v_rcp_f32_e32 v7, v7                                       // 000000008FF8: 7E0E4507
	v_mul_f32_e32 v72, v72, v4                                 // 000000008FFC: 0A900948
	v_mul_f32_e32 v73, v73, v5                                 // 000000009000: 0A920B49
	v_mul_f32_e32 v74, v74, v6                                 // 000000009004: 0A940D4A
	v_mul_f32_e32 v75, v75, v7                                 // 000000009008: 0A960F4B
	v_mul_f32_e32 v72, v72, v120                               // 00000000900C: 0A90F148
	v_mul_f32_e32 v73, v73, v121                               // 000000009010: 0A92F349
	v_mul_f32_e32 v74, v74, v122                               // 000000009014: 0A94F54A
	v_mul_f32_e32 v75, v75, v123                               // 000000009018: 0A96F74B
	v_mul_f32_e64 v4, -v76, s6                                 // 00000000901C: D1050004 20000D4C
	v_mul_f32_e64 v5, -v77, s6                                 // 000000009024: D1050005 20000D4D
	v_mul_f32_e64 v6, -v78, s6                                 // 00000000902C: D1050006 20000D4E
	v_mul_f32_e64 v7, -v79, s6                                 // 000000009034: D1050007 20000D4F
	v_exp_f32_e32 v4, v4                                       // 00000000903C: 7E084104
	v_exp_f32_e32 v5, v5                                       // 000000009040: 7E0A4105
	v_exp_f32_e32 v6, v6                                       // 000000009044: 7E0C4106
	v_exp_f32_e32 v7, v7                                       // 000000009048: 7E0E4107
	v_add_f32_e64 v4, v4, 1.0                                  // 00000000904C: D1010004 0001E504
	v_add_f32_e64 v5, v5, 1.0                                  // 000000009054: D1010005 0001E505
	v_add_f32_e64 v6, v6, 1.0                                  // 00000000905C: D1010006 0001E506
	v_add_f32_e64 v7, v7, 1.0                                  // 000000009064: D1010007 0001E507
	v_rcp_f32_e32 v4, v4                                       // 00000000906C: 7E084504
	v_rcp_f32_e32 v5, v5                                       // 000000009070: 7E0A4505
	v_rcp_f32_e32 v6, v6                                       // 000000009074: 7E0C4506
	v_rcp_f32_e32 v7, v7                                       // 000000009078: 7E0E4507
	v_mul_f32_e32 v76, v76, v4                                 // 00000000907C: 0A98094C
	v_mul_f32_e32 v77, v77, v5                                 // 000000009080: 0A9A0B4D
	v_mul_f32_e32 v78, v78, v6                                 // 000000009084: 0A9C0D4E
	v_mul_f32_e32 v79, v79, v7                                 // 000000009088: 0A9E0F4F
	v_mul_f32_e32 v76, v76, v124                               // 00000000908C: 0A98F94C
	v_mul_f32_e32 v77, v77, v125                               // 000000009090: 0A9AFB4D
	v_mul_f32_e32 v78, v78, v126                               // 000000009094: 0A9CFD4E
	v_mul_f32_e32 v79, v79, v127                               // 000000009098: 0A9EFF4F
	v_mul_f32_e64 v4, -v80, s6                                 // 00000000909C: D1050004 20000D50
	v_mul_f32_e64 v5, -v81, s6                                 // 0000000090A4: D1050005 20000D51
	v_mul_f32_e64 v6, -v82, s6                                 // 0000000090AC: D1050006 20000D52
	v_mul_f32_e64 v7, -v83, s6                                 // 0000000090B4: D1050007 20000D53
	v_exp_f32_e32 v4, v4                                       // 0000000090BC: 7E084104
	v_exp_f32_e32 v5, v5                                       // 0000000090C0: 7E0A4105
	v_exp_f32_e32 v6, v6                                       // 0000000090C4: 7E0C4106
	v_exp_f32_e32 v7, v7                                       // 0000000090C8: 7E0E4107
	v_add_f32_e64 v4, v4, 1.0                                  // 0000000090CC: D1010004 0001E504
	v_add_f32_e64 v5, v5, 1.0                                  // 0000000090D4: D1010005 0001E505
	v_add_f32_e64 v6, v6, 1.0                                  // 0000000090DC: D1010006 0001E506
	v_add_f32_e64 v7, v7, 1.0                                  // 0000000090E4: D1010007 0001E507
	v_rcp_f32_e32 v4, v4                                       // 0000000090EC: 7E084504
	v_rcp_f32_e32 v5, v5                                       // 0000000090F0: 7E0A4505
	v_rcp_f32_e32 v6, v6                                       // 0000000090F4: 7E0C4506
	v_rcp_f32_e32 v7, v7                                       // 0000000090F8: 7E0E4507
	v_mul_f32_e32 v80, v80, v4                                 // 0000000090FC: 0AA00950
	v_mul_f32_e32 v81, v81, v5                                 // 000000009100: 0AA20B51
	v_mul_f32_e32 v82, v82, v6                                 // 000000009104: 0AA40D52
	v_mul_f32_e32 v83, v83, v7                                 // 000000009108: 0AA60F53
	v_mul_f32_e32 v80, v80, v128                               // 00000000910C: 0AA10150
	v_mul_f32_e32 v81, v81, v129                               // 000000009110: 0AA30351
	v_mul_f32_e32 v82, v82, v130                               // 000000009114: 0AA50552
	v_mul_f32_e32 v83, v83, v131                               // 000000009118: 0AA70753
	v_mul_f32_e64 v4, -v84, s6                                 // 00000000911C: D1050004 20000D54
	v_mul_f32_e64 v5, -v85, s6                                 // 000000009124: D1050005 20000D55
	v_mul_f32_e64 v6, -v86, s6                                 // 00000000912C: D1050006 20000D56
	v_mul_f32_e64 v7, -v87, s6                                 // 000000009134: D1050007 20000D57
	v_exp_f32_e32 v4, v4                                       // 00000000913C: 7E084104
	v_exp_f32_e32 v5, v5                                       // 000000009140: 7E0A4105
	v_exp_f32_e32 v6, v6                                       // 000000009144: 7E0C4106
	v_exp_f32_e32 v7, v7                                       // 000000009148: 7E0E4107
	v_add_f32_e64 v4, v4, 1.0                                  // 00000000914C: D1010004 0001E504
	v_add_f32_e64 v5, v5, 1.0                                  // 000000009154: D1010005 0001E505
	v_add_f32_e64 v6, v6, 1.0                                  // 00000000915C: D1010006 0001E506
	v_add_f32_e64 v7, v7, 1.0                                  // 000000009164: D1010007 0001E507
	v_rcp_f32_e32 v4, v4                                       // 00000000916C: 7E084504
	v_rcp_f32_e32 v5, v5                                       // 000000009170: 7E0A4505
	v_rcp_f32_e32 v6, v6                                       // 000000009174: 7E0C4506
	v_rcp_f32_e32 v7, v7                                       // 000000009178: 7E0E4507
	v_mul_f32_e32 v84, v84, v4                                 // 00000000917C: 0AA80954
	v_mul_f32_e32 v85, v85, v5                                 // 000000009180: 0AAA0B55
	v_mul_f32_e32 v86, v86, v6                                 // 000000009184: 0AAC0D56
	v_mul_f32_e32 v87, v87, v7                                 // 000000009188: 0AAE0F57
	v_mul_f32_e32 v84, v84, v132                               // 00000000918C: 0AA90954
	v_mul_f32_e32 v85, v85, v133                               // 000000009190: 0AAB0B55
	v_mul_f32_e32 v86, v86, v134                               // 000000009194: 0AAD0D56
	v_mul_f32_e32 v87, v87, v135                               // 000000009198: 0AAF0F57
	v_mul_f32_e64 v4, -v88, s6                                 // 00000000919C: D1050004 20000D58
	v_mul_f32_e64 v5, -v89, s6                                 // 0000000091A4: D1050005 20000D59
	v_mul_f32_e64 v6, -v90, s6                                 // 0000000091AC: D1050006 20000D5A
	v_mul_f32_e64 v7, -v91, s6                                 // 0000000091B4: D1050007 20000D5B
	v_exp_f32_e32 v4, v4                                       // 0000000091BC: 7E084104
	v_exp_f32_e32 v5, v5                                       // 0000000091C0: 7E0A4105
	v_exp_f32_e32 v6, v6                                       // 0000000091C4: 7E0C4106
	v_exp_f32_e32 v7, v7                                       // 0000000091C8: 7E0E4107
	v_add_f32_e64 v4, v4, 1.0                                  // 0000000091CC: D1010004 0001E504
	v_add_f32_e64 v5, v5, 1.0                                  // 0000000091D4: D1010005 0001E505
	v_add_f32_e64 v6, v6, 1.0                                  // 0000000091DC: D1010006 0001E506
	v_add_f32_e64 v7, v7, 1.0                                  // 0000000091E4: D1010007 0001E507
	v_rcp_f32_e32 v4, v4                                       // 0000000091EC: 7E084504
	v_rcp_f32_e32 v5, v5                                       // 0000000091F0: 7E0A4505
	v_rcp_f32_e32 v6, v6                                       // 0000000091F4: 7E0C4506
	v_rcp_f32_e32 v7, v7                                       // 0000000091F8: 7E0E4507
	v_mul_f32_e32 v88, v88, v4                                 // 0000000091FC: 0AB00958
	v_mul_f32_e32 v89, v89, v5                                 // 000000009200: 0AB20B59
	v_mul_f32_e32 v90, v90, v6                                 // 000000009204: 0AB40D5A
	v_mul_f32_e32 v91, v91, v7                                 // 000000009208: 0AB60F5B
	v_mul_f32_e32 v88, v88, v136                               // 00000000920C: 0AB11158
	v_mul_f32_e32 v89, v89, v137                               // 000000009210: 0AB31359
	v_mul_f32_e32 v90, v90, v138                               // 000000009214: 0AB5155A
	v_mul_f32_e32 v91, v91, v139                               // 000000009218: 0AB7175B
	v_mul_f32_e64 v4, -v92, s6                                 // 00000000921C: D1050004 20000D5C
	v_mul_f32_e64 v5, -v93, s6                                 // 000000009224: D1050005 20000D5D
	v_mul_f32_e64 v6, -v94, s6                                 // 00000000922C: D1050006 20000D5E
	v_mul_f32_e64 v7, -v95, s6                                 // 000000009234: D1050007 20000D5F
	v_exp_f32_e32 v4, v4                                       // 00000000923C: 7E084104
	v_exp_f32_e32 v5, v5                                       // 000000009240: 7E0A4105
	v_exp_f32_e32 v6, v6                                       // 000000009244: 7E0C4106
	v_exp_f32_e32 v7, v7                                       // 000000009248: 7E0E4107
	v_add_f32_e64 v4, v4, 1.0                                  // 00000000924C: D1010004 0001E504
	v_add_f32_e64 v5, v5, 1.0                                  // 000000009254: D1010005 0001E505
	v_add_f32_e64 v6, v6, 1.0                                  // 00000000925C: D1010006 0001E506
	v_add_f32_e64 v7, v7, 1.0                                  // 000000009264: D1010007 0001E507
	v_rcp_f32_e32 v4, v4                                       // 00000000926C: 7E084504
	v_rcp_f32_e32 v5, v5                                       // 000000009270: 7E0A4505
	v_rcp_f32_e32 v6, v6                                       // 000000009274: 7E0C4506
	v_rcp_f32_e32 v7, v7                                       // 000000009278: 7E0E4507
	v_mul_f32_e32 v92, v92, v4                                 // 00000000927C: 0AB8095C
	v_mul_f32_e32 v93, v93, v5                                 // 000000009280: 0ABA0B5D
	v_mul_f32_e32 v94, v94, v6                                 // 000000009284: 0ABC0D5E
	v_mul_f32_e32 v95, v95, v7                                 // 000000009288: 0ABE0F5F
	v_mul_f32_e32 v92, v92, v140                               // 00000000928C: 0AB9195C
	v_mul_f32_e32 v93, v93, v141                               // 000000009290: 0ABB1B5D
	v_mul_f32_e32 v94, v94, v142                               // 000000009294: 0ABD1D5E
	v_mul_f32_e32 v95, v95, v143                               // 000000009298: 0ABF1F5F
	v_mul_f32_e64 v4, -v96, s6                                 // 00000000929C: D1050004 20000D60
	v_mul_f32_e64 v5, -v97, s6                                 // 0000000092A4: D1050005 20000D61
	v_mul_f32_e64 v6, -v98, s6                                 // 0000000092AC: D1050006 20000D62
	v_mul_f32_e64 v7, -v99, s6                                 // 0000000092B4: D1050007 20000D63
	v_exp_f32_e32 v4, v4                                       // 0000000092BC: 7E084104
	v_exp_f32_e32 v5, v5                                       // 0000000092C0: 7E0A4105
	v_exp_f32_e32 v6, v6                                       // 0000000092C4: 7E0C4106
	v_exp_f32_e32 v7, v7                                       // 0000000092C8: 7E0E4107
	v_add_f32_e64 v4, v4, 1.0                                  // 0000000092CC: D1010004 0001E504
	v_add_f32_e64 v5, v5, 1.0                                  // 0000000092D4: D1010005 0001E505
	v_add_f32_e64 v6, v6, 1.0                                  // 0000000092DC: D1010006 0001E506
	v_add_f32_e64 v7, v7, 1.0                                  // 0000000092E4: D1010007 0001E507
	v_rcp_f32_e32 v4, v4                                       // 0000000092EC: 7E084504
	v_rcp_f32_e32 v5, v5                                       // 0000000092F0: 7E0A4505
	v_rcp_f32_e32 v6, v6                                       // 0000000092F4: 7E0C4506
	v_rcp_f32_e32 v7, v7                                       // 0000000092F8: 7E0E4507
	v_mul_f32_e32 v96, v96, v4                                 // 0000000092FC: 0AC00960
	v_mul_f32_e32 v97, v97, v5                                 // 000000009300: 0AC20B61
	v_mul_f32_e32 v98, v98, v6                                 // 000000009304: 0AC40D62
	v_mul_f32_e32 v99, v99, v7                                 // 000000009308: 0AC60F63
	v_mul_f32_e32 v96, v96, v144                               // 00000000930C: 0AC12160
	v_mul_f32_e32 v97, v97, v145                               // 000000009310: 0AC32361
	v_mul_f32_e32 v98, v98, v146                               // 000000009314: 0AC52562
	v_mul_f32_e32 v99, v99, v147                               // 000000009318: 0AC72763
	v_mul_f32_e64 v4, -v100, s6                                // 00000000931C: D1050004 20000D64
	v_mul_f32_e64 v5, -v101, s6                                // 000000009324: D1050005 20000D65
	v_mul_f32_e64 v6, -v102, s6                                // 00000000932C: D1050006 20000D66
	v_mul_f32_e64 v7, -v103, s6                                // 000000009334: D1050007 20000D67
	v_exp_f32_e32 v4, v4                                       // 00000000933C: 7E084104
	v_exp_f32_e32 v5, v5                                       // 000000009340: 7E0A4105
	v_exp_f32_e32 v6, v6                                       // 000000009344: 7E0C4106
	v_exp_f32_e32 v7, v7                                       // 000000009348: 7E0E4107
	v_add_f32_e64 v4, v4, 1.0                                  // 00000000934C: D1010004 0001E504
	v_add_f32_e64 v5, v5, 1.0                                  // 000000009354: D1010005 0001E505
	v_add_f32_e64 v6, v6, 1.0                                  // 00000000935C: D1010006 0001E506
	v_add_f32_e64 v7, v7, 1.0                                  // 000000009364: D1010007 0001E507
	v_rcp_f32_e32 v4, v4                                       // 00000000936C: 7E084504
	v_rcp_f32_e32 v5, v5                                       // 000000009370: 7E0A4505
	v_rcp_f32_e32 v6, v6                                       // 000000009374: 7E0C4506
	v_rcp_f32_e32 v7, v7                                       // 000000009378: 7E0E4507
	v_mul_f32_e32 v100, v100, v4                               // 00000000937C: 0AC80964
	v_mul_f32_e32 v101, v101, v5                               // 000000009380: 0ACA0B65
	v_mul_f32_e32 v102, v102, v6                               // 000000009384: 0ACC0D66
	v_mul_f32_e32 v103, v103, v7                               // 000000009388: 0ACE0F67
	v_mul_f32_e32 v100, v100, v148                             // 00000000938C: 0AC92964
	v_mul_f32_e32 v101, v101, v149                             // 000000009390: 0ACB2B65
	v_mul_f32_e32 v102, v102, v150                             // 000000009394: 0ACD2D66
	v_mul_f32_e32 v103, v103, v151                             // 000000009398: 0ACF2F67
	v_mul_f32_e64 v4, -v104, s6                                // 00000000939C: D1050004 20000D68
	v_mul_f32_e64 v5, -v105, s6                                // 0000000093A4: D1050005 20000D69
	v_mul_f32_e64 v6, -v106, s6                                // 0000000093AC: D1050006 20000D6A
	v_mul_f32_e64 v7, -v107, s6                                // 0000000093B4: D1050007 20000D6B
	v_exp_f32_e32 v4, v4                                       // 0000000093BC: 7E084104
	v_exp_f32_e32 v5, v5                                       // 0000000093C0: 7E0A4105
	v_exp_f32_e32 v6, v6                                       // 0000000093C4: 7E0C4106
	v_exp_f32_e32 v7, v7                                       // 0000000093C8: 7E0E4107
	v_add_f32_e64 v4, v4, 1.0                                  // 0000000093CC: D1010004 0001E504
	v_add_f32_e64 v5, v5, 1.0                                  // 0000000093D4: D1010005 0001E505
	v_add_f32_e64 v6, v6, 1.0                                  // 0000000093DC: D1010006 0001E506
	v_add_f32_e64 v7, v7, 1.0                                  // 0000000093E4: D1010007 0001E507
	v_rcp_f32_e32 v4, v4                                       // 0000000093EC: 7E084504
	v_rcp_f32_e32 v5, v5                                       // 0000000093F0: 7E0A4505
	v_rcp_f32_e32 v6, v6                                       // 0000000093F4: 7E0C4506
	v_rcp_f32_e32 v7, v7                                       // 0000000093F8: 7E0E4507
	v_mul_f32_e32 v104, v104, v4                               // 0000000093FC: 0AD00968
	v_mul_f32_e32 v105, v105, v5                               // 000000009400: 0AD20B69
	v_mul_f32_e32 v106, v106, v6                               // 000000009404: 0AD40D6A
	v_mul_f32_e32 v107, v107, v7                               // 000000009408: 0AD60F6B
	v_mul_f32_e32 v104, v104, v152                             // 00000000940C: 0AD13168
	v_mul_f32_e32 v105, v105, v153                             // 000000009410: 0AD33369
	v_mul_f32_e32 v106, v106, v154                             // 000000009414: 0AD5356A
	v_mul_f32_e32 v107, v107, v155                             // 000000009418: 0AD7376B
	v_mul_f32_e64 v4, -v108, s6                                // 00000000941C: D1050004 20000D6C
	v_mul_f32_e64 v5, -v109, s6                                // 000000009424: D1050005 20000D6D
	v_mul_f32_e64 v6, -v110, s6                                // 00000000942C: D1050006 20000D6E
	v_mul_f32_e64 v7, -v111, s6                                // 000000009434: D1050007 20000D6F
	v_exp_f32_e32 v4, v4                                       // 00000000943C: 7E084104
	v_exp_f32_e32 v5, v5                                       // 000000009440: 7E0A4105
	v_exp_f32_e32 v6, v6                                       // 000000009444: 7E0C4106
	v_exp_f32_e32 v7, v7                                       // 000000009448: 7E0E4107
	v_add_f32_e64 v4, v4, 1.0                                  // 00000000944C: D1010004 0001E504
	v_add_f32_e64 v5, v5, 1.0                                  // 000000009454: D1010005 0001E505
	v_add_f32_e64 v6, v6, 1.0                                  // 00000000945C: D1010006 0001E506
	v_add_f32_e64 v7, v7, 1.0                                  // 000000009464: D1010007 0001E507
	v_rcp_f32_e32 v4, v4                                       // 00000000946C: 7E084504
	v_rcp_f32_e32 v5, v5                                       // 000000009470: 7E0A4505
	v_rcp_f32_e32 v6, v6                                       // 000000009474: 7E0C4506
	v_rcp_f32_e32 v7, v7                                       // 000000009478: 7E0E4507
	v_mul_f32_e32 v108, v108, v4                               // 00000000947C: 0AD8096C
	v_mul_f32_e32 v109, v109, v5                               // 000000009480: 0ADA0B6D
	v_mul_f32_e32 v110, v110, v6                               // 000000009484: 0ADC0D6E
	v_mul_f32_e32 v111, v111, v7                               // 000000009488: 0ADE0F6F
	v_mul_f32_e32 v108, v108, v156                             // 00000000948C: 0AD9396C
	v_mul_f32_e32 v109, v109, v157                             // 000000009490: 0ADB3B6D
	v_mul_f32_e32 v110, v110, v158                             // 000000009494: 0ADD3D6E
	v_mul_f32_e32 v111, v111, v159                             // 000000009498: 0ADF3F6F
	v_mul_f32_e64 v4, -v112, s6                                // 00000000949C: D1050004 20000D70
	v_mul_f32_e64 v5, -v113, s6                                // 0000000094A4: D1050005 20000D71
	v_mul_f32_e64 v6, -v114, s6                                // 0000000094AC: D1050006 20000D72
	v_mul_f32_e64 v7, -v115, s6                                // 0000000094B4: D1050007 20000D73
	v_exp_f32_e32 v4, v4                                       // 0000000094BC: 7E084104
	v_exp_f32_e32 v5, v5                                       // 0000000094C0: 7E0A4105
	v_exp_f32_e32 v6, v6                                       // 0000000094C4: 7E0C4106
	v_exp_f32_e32 v7, v7                                       // 0000000094C8: 7E0E4107
	v_add_f32_e64 v4, v4, 1.0                                  // 0000000094CC: D1010004 0001E504
	v_add_f32_e64 v5, v5, 1.0                                  // 0000000094D4: D1010005 0001E505
	v_add_f32_e64 v6, v6, 1.0                                  // 0000000094DC: D1010006 0001E506
	v_add_f32_e64 v7, v7, 1.0                                  // 0000000094E4: D1010007 0001E507
	v_rcp_f32_e32 v4, v4                                       // 0000000094EC: 7E084504
	v_rcp_f32_e32 v5, v5                                       // 0000000094F0: 7E0A4505
	v_rcp_f32_e32 v6, v6                                       // 0000000094F4: 7E0C4506
	v_rcp_f32_e32 v7, v7                                       // 0000000094F8: 7E0E4507
	v_mul_f32_e32 v112, v112, v4                               // 0000000094FC: 0AE00970
	v_mul_f32_e32 v113, v113, v5                               // 000000009500: 0AE20B71
	v_mul_f32_e32 v114, v114, v6                               // 000000009504: 0AE40D72
	v_mul_f32_e32 v115, v115, v7                               // 000000009508: 0AE60F73
	v_mul_f32_e32 v112, v112, v160                             // 00000000950C: 0AE14170
	v_mul_f32_e32 v113, v113, v161                             // 000000009510: 0AE34371
	v_mul_f32_e32 v114, v114, v162                             // 000000009514: 0AE54572
	v_mul_f32_e32 v115, v115, v163                             // 000000009518: 0AE74773

000000000000951c <label_1ACA>:
	v_cmp_u_f32_e64 s[46:47], v68, v68                         // 00000000951C: D048002E 00028944
	v_add3_u32 v16, v68, v19, 1                                // 000000009524: D1FF0010 02062744
	v_cndmask_b32_e64 v4, v16, v18, s[46:47]                   // 00000000952C: D1000004 00BA2510
	v_cmp_u_f32_e64 s[46:47], v69, v69                         // 000000009534: D048002E 00028B45
	v_add3_u32 v16, v69, v19, 1                                // 00000000953C: D1FF0010 02062745
	v_cndmask_b32_e64 v5, v16, v18, s[46:47]                   // 000000009544: D1000005 00BA2510
	v_perm_b32 v68, v5, v4, s52                                // 00000000954C: D1ED0044 00D20905
	v_cmp_u_f32_e64 s[46:47], v70, v70                         // 000000009554: D048002E 00028D46
	v_add3_u32 v16, v70, v19, 1                                // 00000000955C: D1FF0010 02062746
	v_cndmask_b32_e64 v4, v16, v18, s[46:47]                   // 000000009564: D1000004 00BA2510
	v_cmp_u_f32_e64 s[46:47], v71, v71                         // 00000000956C: D048002E 00028F47
	v_add3_u32 v16, v71, v19, 1                                // 000000009574: D1FF0010 02062747
	v_cndmask_b32_e64 v5, v16, v18, s[46:47]                   // 00000000957C: D1000005 00BA2510
	v_perm_b32 v69, v5, v4, s52                                // 000000009584: D1ED0045 00D20905
	v_cmp_u_f32_e64 s[46:47], v72, v72                         // 00000000958C: D048002E 00029148
	v_add3_u32 v16, v72, v19, 1                                // 000000009594: D1FF0010 02062748
	v_cndmask_b32_e64 v4, v16, v18, s[46:47]                   // 00000000959C: D1000004 00BA2510
	v_cmp_u_f32_e64 s[46:47], v73, v73                         // 0000000095A4: D048002E 00029349
	v_add3_u32 v16, v73, v19, 1                                // 0000000095AC: D1FF0010 02062749
	v_cndmask_b32_e64 v5, v16, v18, s[46:47]                   // 0000000095B4: D1000005 00BA2510
	v_perm_b32 v70, v5, v4, s52                                // 0000000095BC: D1ED0046 00D20905
	v_cmp_u_f32_e64 s[46:47], v74, v74                         // 0000000095C4: D048002E 0002954A
	v_add3_u32 v16, v74, v19, 1                                // 0000000095CC: D1FF0010 0206274A
	v_cndmask_b32_e64 v4, v16, v18, s[46:47]                   // 0000000095D4: D1000004 00BA2510
	v_cmp_u_f32_e64 s[46:47], v75, v75                         // 0000000095DC: D048002E 0002974B
	v_add3_u32 v16, v75, v19, 1                                // 0000000095E4: D1FF0010 0206274B
	v_cndmask_b32_e64 v5, v16, v18, s[46:47]                   // 0000000095EC: D1000005 00BA2510
	v_perm_b32 v71, v5, v4, s52                                // 0000000095F4: D1ED0047 00D20905
	v_cmp_u_f32_e64 s[46:47], v76, v76                         // 0000000095FC: D048002E 0002994C
	v_add3_u32 v16, v76, v19, 1                                // 000000009604: D1FF0010 0206274C
	v_cndmask_b32_e64 v4, v16, v18, s[46:47]                   // 00000000960C: D1000004 00BA2510
	v_cmp_u_f32_e64 s[46:47], v77, v77                         // 000000009614: D048002E 00029B4D
	v_add3_u32 v16, v77, v19, 1                                // 00000000961C: D1FF0010 0206274D
	v_cndmask_b32_e64 v5, v16, v18, s[46:47]                   // 000000009624: D1000005 00BA2510
	v_perm_b32 v72, v5, v4, s52                                // 00000000962C: D1ED0048 00D20905
	v_cmp_u_f32_e64 s[46:47], v78, v78                         // 000000009634: D048002E 00029D4E
	v_add3_u32 v16, v78, v19, 1                                // 00000000963C: D1FF0010 0206274E
	v_cndmask_b32_e64 v4, v16, v18, s[46:47]                   // 000000009644: D1000004 00BA2510
	v_cmp_u_f32_e64 s[46:47], v79, v79                         // 00000000964C: D048002E 00029F4F
	v_add3_u32 v16, v79, v19, 1                                // 000000009654: D1FF0010 0206274F
	v_cndmask_b32_e64 v5, v16, v18, s[46:47]                   // 00000000965C: D1000005 00BA2510
	v_perm_b32 v73, v5, v4, s52                                // 000000009664: D1ED0049 00D20905
	v_cmp_u_f32_e64 s[46:47], v80, v80                         // 00000000966C: D048002E 0002A150
	v_add3_u32 v16, v80, v19, 1                                // 000000009674: D1FF0010 02062750
	v_cndmask_b32_e64 v4, v16, v18, s[46:47]                   // 00000000967C: D1000004 00BA2510
	v_cmp_u_f32_e64 s[46:47], v81, v81                         // 000000009684: D048002E 0002A351
	v_add3_u32 v16, v81, v19, 1                                // 00000000968C: D1FF0010 02062751
	v_cndmask_b32_e64 v5, v16, v18, s[46:47]                   // 000000009694: D1000005 00BA2510
	v_perm_b32 v74, v5, v4, s52                                // 00000000969C: D1ED004A 00D20905
	v_cmp_u_f32_e64 s[46:47], v82, v82                         // 0000000096A4: D048002E 0002A552
	v_add3_u32 v16, v82, v19, 1                                // 0000000096AC: D1FF0010 02062752
	v_cndmask_b32_e64 v4, v16, v18, s[46:47]                   // 0000000096B4: D1000004 00BA2510
	v_cmp_u_f32_e64 s[46:47], v83, v83                         // 0000000096BC: D048002E 0002A753
	v_add3_u32 v16, v83, v19, 1                                // 0000000096C4: D1FF0010 02062753
	v_cndmask_b32_e64 v5, v16, v18, s[46:47]                   // 0000000096CC: D1000005 00BA2510
	v_perm_b32 v75, v5, v4, s52                                // 0000000096D4: D1ED004B 00D20905
	v_cmp_u_f32_e64 s[46:47], v84, v84                         // 0000000096DC: D048002E 0002A954
	v_add3_u32 v16, v84, v19, 1                                // 0000000096E4: D1FF0010 02062754
	v_cndmask_b32_e64 v4, v16, v18, s[46:47]                   // 0000000096EC: D1000004 00BA2510
	v_cmp_u_f32_e64 s[46:47], v85, v85                         // 0000000096F4: D048002E 0002AB55
	v_add3_u32 v16, v85, v19, 1                                // 0000000096FC: D1FF0010 02062755
	v_cndmask_b32_e64 v5, v16, v18, s[46:47]                   // 000000009704: D1000005 00BA2510
	v_perm_b32 v76, v5, v4, s52                                // 00000000970C: D1ED004C 00D20905
	v_cmp_u_f32_e64 s[46:47], v86, v86                         // 000000009714: D048002E 0002AD56
	v_add3_u32 v16, v86, v19, 1                                // 00000000971C: D1FF0010 02062756
	v_cndmask_b32_e64 v4, v16, v18, s[46:47]                   // 000000009724: D1000004 00BA2510
	v_cmp_u_f32_e64 s[46:47], v87, v87                         // 00000000972C: D048002E 0002AF57
	v_add3_u32 v16, v87, v19, 1                                // 000000009734: D1FF0010 02062757
	v_cndmask_b32_e64 v5, v16, v18, s[46:47]                   // 00000000973C: D1000005 00BA2510
	v_perm_b32 v77, v5, v4, s52                                // 000000009744: D1ED004D 00D20905
	v_cmp_u_f32_e64 s[46:47], v88, v88                         // 00000000974C: D048002E 0002B158
	v_add3_u32 v16, v88, v19, 1                                // 000000009754: D1FF0010 02062758
	v_cndmask_b32_e64 v4, v16, v18, s[46:47]                   // 00000000975C: D1000004 00BA2510
	v_cmp_u_f32_e64 s[46:47], v89, v89                         // 000000009764: D048002E 0002B359
	v_add3_u32 v16, v89, v19, 1                                // 00000000976C: D1FF0010 02062759
	v_cndmask_b32_e64 v5, v16, v18, s[46:47]                   // 000000009774: D1000005 00BA2510
	v_perm_b32 v78, v5, v4, s52                                // 00000000977C: D1ED004E 00D20905
	v_cmp_u_f32_e64 s[46:47], v90, v90                         // 000000009784: D048002E 0002B55A
	v_add3_u32 v16, v90, v19, 1                                // 00000000978C: D1FF0010 0206275A
	v_cndmask_b32_e64 v4, v16, v18, s[46:47]                   // 000000009794: D1000004 00BA2510
	v_cmp_u_f32_e64 s[46:47], v91, v91                         // 00000000979C: D048002E 0002B75B
	v_add3_u32 v16, v91, v19, 1                                // 0000000097A4: D1FF0010 0206275B
	v_cndmask_b32_e64 v5, v16, v18, s[46:47]                   // 0000000097AC: D1000005 00BA2510
	v_perm_b32 v79, v5, v4, s52                                // 0000000097B4: D1ED004F 00D20905
	v_cmp_u_f32_e64 s[46:47], v92, v92                         // 0000000097BC: D048002E 0002B95C
	v_add3_u32 v16, v92, v19, 1                                // 0000000097C4: D1FF0010 0206275C
	v_cndmask_b32_e64 v4, v16, v18, s[46:47]                   // 0000000097CC: D1000004 00BA2510
	v_cmp_u_f32_e64 s[46:47], v93, v93                         // 0000000097D4: D048002E 0002BB5D
	v_add3_u32 v16, v93, v19, 1                                // 0000000097DC: D1FF0010 0206275D
	v_cndmask_b32_e64 v5, v16, v18, s[46:47]                   // 0000000097E4: D1000005 00BA2510
	v_perm_b32 v80, v5, v4, s52                                // 0000000097EC: D1ED0050 00D20905
	v_cmp_u_f32_e64 s[46:47], v94, v94                         // 0000000097F4: D048002E 0002BD5E
	v_add3_u32 v16, v94, v19, 1                                // 0000000097FC: D1FF0010 0206275E
	v_cndmask_b32_e64 v4, v16, v18, s[46:47]                   // 000000009804: D1000004 00BA2510
	v_cmp_u_f32_e64 s[46:47], v95, v95                         // 00000000980C: D048002E 0002BF5F
	v_add3_u32 v16, v95, v19, 1                                // 000000009814: D1FF0010 0206275F
	v_cndmask_b32_e64 v5, v16, v18, s[46:47]                   // 00000000981C: D1000005 00BA2510
	v_perm_b32 v81, v5, v4, s52                                // 000000009824: D1ED0051 00D20905
	v_cmp_u_f32_e64 s[46:47], v96, v96                         // 00000000982C: D048002E 0002C160
	v_add3_u32 v16, v96, v19, 1                                // 000000009834: D1FF0010 02062760
	v_cndmask_b32_e64 v4, v16, v18, s[46:47]                   // 00000000983C: D1000004 00BA2510
	v_cmp_u_f32_e64 s[46:47], v97, v97                         // 000000009844: D048002E 0002C361
	v_add3_u32 v16, v97, v19, 1                                // 00000000984C: D1FF0010 02062761
	v_cndmask_b32_e64 v5, v16, v18, s[46:47]                   // 000000009854: D1000005 00BA2510
	v_perm_b32 v82, v5, v4, s52                                // 00000000985C: D1ED0052 00D20905
	v_cmp_u_f32_e64 s[46:47], v98, v98                         // 000000009864: D048002E 0002C562
	v_add3_u32 v16, v98, v19, 1                                // 00000000986C: D1FF0010 02062762
	v_cndmask_b32_e64 v4, v16, v18, s[46:47]                   // 000000009874: D1000004 00BA2510
	v_cmp_u_f32_e64 s[46:47], v99, v99                         // 00000000987C: D048002E 0002C763
	v_add3_u32 v16, v99, v19, 1                                // 000000009884: D1FF0010 02062763
	v_cndmask_b32_e64 v5, v16, v18, s[46:47]                   // 00000000988C: D1000005 00BA2510
	v_perm_b32 v83, v5, v4, s52                                // 000000009894: D1ED0053 00D20905
	v_cmp_u_f32_e64 s[46:47], v100, v100                       // 00000000989C: D048002E 0002C964
	v_add3_u32 v16, v100, v19, 1                               // 0000000098A4: D1FF0010 02062764
	v_cndmask_b32_e64 v4, v16, v18, s[46:47]                   // 0000000098AC: D1000004 00BA2510
	v_cmp_u_f32_e64 s[46:47], v101, v101                       // 0000000098B4: D048002E 0002CB65
	v_add3_u32 v16, v101, v19, 1                               // 0000000098BC: D1FF0010 02062765
	v_cndmask_b32_e64 v5, v16, v18, s[46:47]                   // 0000000098C4: D1000005 00BA2510
	v_perm_b32 v84, v5, v4, s52                                // 0000000098CC: D1ED0054 00D20905
	v_cmp_u_f32_e64 s[46:47], v102, v102                       // 0000000098D4: D048002E 0002CD66
	v_add3_u32 v16, v102, v19, 1                               // 0000000098DC: D1FF0010 02062766
	v_cndmask_b32_e64 v4, v16, v18, s[46:47]                   // 0000000098E4: D1000004 00BA2510
	v_cmp_u_f32_e64 s[46:47], v103, v103                       // 0000000098EC: D048002E 0002CF67
	v_add3_u32 v16, v103, v19, 1                               // 0000000098F4: D1FF0010 02062767
	v_cndmask_b32_e64 v5, v16, v18, s[46:47]                   // 0000000098FC: D1000005 00BA2510
	v_perm_b32 v85, v5, v4, s52                                // 000000009904: D1ED0055 00D20905
	v_cmp_u_f32_e64 s[46:47], v104, v104                       // 00000000990C: D048002E 0002D168
	v_add3_u32 v16, v104, v19, 1                               // 000000009914: D1FF0010 02062768
	v_cndmask_b32_e64 v4, v16, v18, s[46:47]                   // 00000000991C: D1000004 00BA2510
	v_cmp_u_f32_e64 s[46:47], v105, v105                       // 000000009924: D048002E 0002D369
	v_add3_u32 v16, v105, v19, 1                               // 00000000992C: D1FF0010 02062769
	v_cndmask_b32_e64 v5, v16, v18, s[46:47]                   // 000000009934: D1000005 00BA2510
	v_perm_b32 v86, v5, v4, s52                                // 00000000993C: D1ED0056 00D20905
	v_cmp_u_f32_e64 s[46:47], v106, v106                       // 000000009944: D048002E 0002D56A
	v_add3_u32 v16, v106, v19, 1                               // 00000000994C: D1FF0010 0206276A
	v_cndmask_b32_e64 v4, v16, v18, s[46:47]                   // 000000009954: D1000004 00BA2510
	v_cmp_u_f32_e64 s[46:47], v107, v107                       // 00000000995C: D048002E 0002D76B
	v_add3_u32 v16, v107, v19, 1                               // 000000009964: D1FF0010 0206276B
	v_cndmask_b32_e64 v5, v16, v18, s[46:47]                   // 00000000996C: D1000005 00BA2510
	v_perm_b32 v87, v5, v4, s52                                // 000000009974: D1ED0057 00D20905
	v_cmp_u_f32_e64 s[46:47], v108, v108                       // 00000000997C: D048002E 0002D96C
	v_add3_u32 v16, v108, v19, 1                               // 000000009984: D1FF0010 0206276C
	v_cndmask_b32_e64 v4, v16, v18, s[46:47]                   // 00000000998C: D1000004 00BA2510
	v_cmp_u_f32_e64 s[46:47], v109, v109                       // 000000009994: D048002E 0002DB6D
	v_add3_u32 v16, v109, v19, 1                               // 00000000999C: D1FF0010 0206276D
	v_cndmask_b32_e64 v5, v16, v18, s[46:47]                   // 0000000099A4: D1000005 00BA2510
	v_perm_b32 v88, v5, v4, s52                                // 0000000099AC: D1ED0058 00D20905
	v_cmp_u_f32_e64 s[46:47], v110, v110                       // 0000000099B4: D048002E 0002DD6E
	v_add3_u32 v16, v110, v19, 1                               // 0000000099BC: D1FF0010 0206276E
	v_cndmask_b32_e64 v4, v16, v18, s[46:47]                   // 0000000099C4: D1000004 00BA2510
	v_cmp_u_f32_e64 s[46:47], v111, v111                       // 0000000099CC: D048002E 0002DF6F
	v_add3_u32 v16, v111, v19, 1                               // 0000000099D4: D1FF0010 0206276F
	v_cndmask_b32_e64 v5, v16, v18, s[46:47]                   // 0000000099DC: D1000005 00BA2510
	v_perm_b32 v89, v5, v4, s52                                // 0000000099E4: D1ED0059 00D20905
	v_cmp_u_f32_e64 s[46:47], v112, v112                       // 0000000099EC: D048002E 0002E170
	v_add3_u32 v16, v112, v19, 1                               // 0000000099F4: D1FF0010 02062770
	v_cndmask_b32_e64 v4, v16, v18, s[46:47]                   // 0000000099FC: D1000004 00BA2510
	v_cmp_u_f32_e64 s[46:47], v113, v113                       // 000000009A04: D048002E 0002E371
	v_add3_u32 v16, v113, v19, 1                               // 000000009A0C: D1FF0010 02062771
	v_cndmask_b32_e64 v5, v16, v18, s[46:47]                   // 000000009A14: D1000005 00BA2510
	v_perm_b32 v90, v5, v4, s52                                // 000000009A1C: D1ED005A 00D20905
	v_cmp_u_f32_e64 s[46:47], v114, v114                       // 000000009A24: D048002E 0002E572
	v_add3_u32 v16, v114, v19, 1                               // 000000009A2C: D1FF0010 02062772
	v_cndmask_b32_e64 v4, v16, v18, s[46:47]                   // 000000009A34: D1000004 00BA2510
	v_cmp_u_f32_e64 s[46:47], v115, v115                       // 000000009A3C: D048002E 0002E773
	v_add3_u32 v16, v115, v19, 1                               // 000000009A44: D1FF0010 02062773
	v_cndmask_b32_e64 v5, v16, v18, s[46:47]                   // 000000009A4C: D1000005 00BA2510
	v_perm_b32 v91, v5, v4, s52                                // 000000009A54: D1ED005B 00D20905
	ds_write_b64 v20, v[68:69]                                 // 000000009A5C: D89A0000 00004414
	ds_write_b64 v20, v[70:71] offset:4352                     // 000000009A64: D89A1100 00004614
	ds_write_b64 v20, v[72:73] offset:8704                     // 000000009A6C: D89A2200 00004814
	ds_write_b64 v20, v[74:75] offset:13056                    // 000000009A74: D89A3300 00004A14
	ds_write_b64 v20, v[76:77] offset:17408                    // 000000009A7C: D89A4400 00004C14
	ds_write_b64 v20, v[78:79] offset:21760                    // 000000009A84: D89A5500 00004E14
	ds_write_b64 v20, v[80:81] offset:2176                     // 000000009A8C: D89A0880 00005014
	ds_write_b64 v20, v[82:83] offset:6528                     // 000000009A94: D89A1980 00005214
	ds_write_b64 v20, v[84:85] offset:10880                    // 000000009A9C: D89A2A80 00005414
	ds_write_b64 v20, v[86:87] offset:15232                    // 000000009AA4: D89A3B80 00005614
	ds_write_b64 v20, v[88:89] offset:19584                    // 000000009AAC: D89A4C80 00005814
	ds_write_b64 v20, v[90:91] offset:23936                    // 000000009AB4: D89A5D80 00005A14
	v_lshrrev_b32_e32 v4, 5, v0                                // 000000009ABC: 20080085
	v_xor_b32_e32 v5, 1, v4                                    // 000000009AC0: 2A0A0881
	s_mul_i32 s60, s65, 2                                      // 000000009AC4: 923C8241
	s_cmp_eq_u32 s88, 0                                        // 000000009AC8: BF068058
	s_cselect_b32 s61, 1, 4                                    // 000000009ACC: 853D8481
	s_mul_i32 s60, s61, s60                                    // 000000009AD0: 923C3C3D
	v_readlane_b32 s82, v3, 0                                  // 000000009AD4: D2890052 00010103
	s_lshr_b32 s61, s82, 24                                    // 000000009ADC: 8F3D9852
	s_and_b32 s82, s82, 0xffffff                               // 000000009AE0: 8652FF52 00FFFFFF
	s_mul_i32 s82, s82, s71                                    // 000000009AE8: 92524752
	s_mul_i32 s61, s60, s61                                    // 000000009AEC: 923D3D3C
	s_add_u32 s82, s82, s61                                    // 000000009AF0: 80523D52
	v_mul_lo_u32 v6, v5, s82                                   // 000000009AF4: D2850006 0000A505
	v_readlane_b32 s82, v3, 1                                  // 000000009AFC: D2890052 00010303
	s_lshr_b32 s61, s82, 24                                    // 000000009B04: 8F3D9852
	s_and_b32 s82, s82, 0xffffff                               // 000000009B08: 8652FF52 00FFFFFF
	s_mul_i32 s82, s82, s71                                    // 000000009B10: 92524752
	s_mul_i32 s61, s60, s61                                    // 000000009B14: 923D3D3C
	s_add_u32 s82, s82, s61                                    // 000000009B18: 80523D52
	v_mul_lo_u32 v7, v4, s82                                   // 000000009B1C: D2850007 0000A504
	v_add_u32_e32 v52, v6, v7                                  // 000000009B24: 68680F06
	v_readlane_b32 s82, v3, 2                                  // 000000009B28: D2890052 00010503
	s_lshr_b32 s61, s82, 24                                    // 000000009B30: 8F3D9852
	s_and_b32 s82, s82, 0xffffff                               // 000000009B34: 8652FF52 00FFFFFF
	s_mul_i32 s82, s82, s71                                    // 000000009B3C: 92524752
	s_mul_i32 s61, s60, s61                                    // 000000009B40: 923D3D3C
	s_add_u32 s82, s82, s61                                    // 000000009B44: 80523D52
	v_mul_lo_u32 v6, v5, s82                                   // 000000009B48: D2850006 0000A505
	v_readlane_b32 s82, v3, 3                                  // 000000009B50: D2890052 00010703
	s_lshr_b32 s61, s82, 24                                    // 000000009B58: 8F3D9852
	s_and_b32 s82, s82, 0xffffff                               // 000000009B5C: 8652FF52 00FFFFFF
	s_mul_i32 s82, s82, s71                                    // 000000009B64: 92524752
	s_mul_i32 s61, s60, s61                                    // 000000009B68: 923D3D3C
	s_add_u32 s82, s82, s61                                    // 000000009B6C: 80523D52
	v_mul_lo_u32 v7, v4, s82                                   // 000000009B70: D2850007 0000A504
	v_add_u32_e32 v53, v6, v7                                  // 000000009B78: 686A0F06
	v_readlane_b32 s82, v3, 4                                  // 000000009B7C: D2890052 00010903
	s_lshr_b32 s61, s82, 24                                    // 000000009B84: 8F3D9852
	s_and_b32 s82, s82, 0xffffff                               // 000000009B88: 8652FF52 00FFFFFF
	s_mul_i32 s82, s82, s71                                    // 000000009B90: 92524752
	s_mul_i32 s61, s60, s61                                    // 000000009B94: 923D3D3C
	s_add_u32 s82, s82, s61                                    // 000000009B98: 80523D52
	v_mul_lo_u32 v6, v5, s82                                   // 000000009B9C: D2850006 0000A505
	v_readlane_b32 s82, v3, 5                                  // 000000009BA4: D2890052 00010B03
	s_lshr_b32 s61, s82, 24                                    // 000000009BAC: 8F3D9852
	s_and_b32 s82, s82, 0xffffff                               // 000000009BB0: 8652FF52 00FFFFFF
	s_mul_i32 s82, s82, s71                                    // 000000009BB8: 92524752
	s_mul_i32 s61, s60, s61                                    // 000000009BBC: 923D3D3C
	s_add_u32 s82, s82, s61                                    // 000000009BC0: 80523D52
	v_mul_lo_u32 v7, v4, s82                                   // 000000009BC4: D2850007 0000A504
	v_add_u32_e32 v54, v6, v7                                  // 000000009BCC: 686C0F06
	v_readlane_b32 s82, v3, 6                                  // 000000009BD0: D2890052 00010D03
	s_lshr_b32 s61, s82, 24                                    // 000000009BD8: 8F3D9852
	s_and_b32 s82, s82, 0xffffff                               // 000000009BDC: 8652FF52 00FFFFFF
	s_mul_i32 s82, s82, s71                                    // 000000009BE4: 92524752
	s_mul_i32 s61, s60, s61                                    // 000000009BE8: 923D3D3C
	s_add_u32 s82, s82, s61                                    // 000000009BEC: 80523D52
	v_mul_lo_u32 v6, v5, s82                                   // 000000009BF0: D2850006 0000A505
	v_readlane_b32 s82, v3, 7                                  // 000000009BF8: D2890052 00010F03
	s_lshr_b32 s61, s82, 24                                    // 000000009C00: 8F3D9852
	s_and_b32 s82, s82, 0xffffff                               // 000000009C04: 8652FF52 00FFFFFF
	s_mul_i32 s82, s82, s71                                    // 000000009C0C: 92524752
	s_mul_i32 s61, s60, s61                                    // 000000009C10: 923D3D3C
	s_add_u32 s82, s82, s61                                    // 000000009C14: 80523D52
	v_mul_lo_u32 v7, v4, s82                                   // 000000009C18: D2850007 0000A504
	v_add_u32_e32 v55, v6, v7                                  // 000000009C20: 686E0F06
	v_readlane_b32 s82, v3, 8                                  // 000000009C24: D2890052 00011103
	s_lshr_b32 s61, s82, 24                                    // 000000009C2C: 8F3D9852
	s_and_b32 s82, s82, 0xffffff                               // 000000009C30: 8652FF52 00FFFFFF
	s_mul_i32 s82, s82, s71                                    // 000000009C38: 92524752
	s_mul_i32 s61, s60, s61                                    // 000000009C3C: 923D3D3C
	s_add_u32 s82, s82, s61                                    // 000000009C40: 80523D52
	v_mul_lo_u32 v6, v5, s82                                   // 000000009C44: D2850006 0000A505
	v_readlane_b32 s82, v3, 9                                  // 000000009C4C: D2890052 00011303
	s_lshr_b32 s61, s82, 24                                    // 000000009C54: 8F3D9852
	s_and_b32 s82, s82, 0xffffff                               // 000000009C58: 8652FF52 00FFFFFF
	s_mul_i32 s82, s82, s71                                    // 000000009C60: 92524752
	s_mul_i32 s61, s60, s61                                    // 000000009C64: 923D3D3C
	s_add_u32 s82, s82, s61                                    // 000000009C68: 80523D52
	v_mul_lo_u32 v7, v4, s82                                   // 000000009C6C: D2850007 0000A504
	v_add_u32_e32 v56, v6, v7                                  // 000000009C74: 68700F06
	v_readlane_b32 s82, v3, 10                                 // 000000009C78: D2890052 00011503
	s_lshr_b32 s61, s82, 24                                    // 000000009C80: 8F3D9852
	s_and_b32 s82, s82, 0xffffff                               // 000000009C84: 8652FF52 00FFFFFF
	s_mul_i32 s82, s82, s71                                    // 000000009C8C: 92524752
	s_mul_i32 s61, s60, s61                                    // 000000009C90: 923D3D3C
	s_add_u32 s82, s82, s61                                    // 000000009C94: 80523D52
	v_mul_lo_u32 v6, v5, s82                                   // 000000009C98: D2850006 0000A505
	v_readlane_b32 s82, v3, 11                                 // 000000009CA0: D2890052 00011703
	s_lshr_b32 s61, s82, 24                                    // 000000009CA8: 8F3D9852
	s_and_b32 s82, s82, 0xffffff                               // 000000009CAC: 8652FF52 00FFFFFF
	s_mul_i32 s82, s82, s71                                    // 000000009CB4: 92524752
	s_mul_i32 s61, s60, s61                                    // 000000009CB8: 923D3D3C
	s_add_u32 s82, s82, s61                                    // 000000009CBC: 80523D52
	v_mul_lo_u32 v7, v4, s82                                   // 000000009CC0: D2850007 0000A504
	v_add_u32_e32 v57, v6, v7                                  // 000000009CC8: 68720F06
	v_readlane_b32 s82, v3, 12                                 // 000000009CCC: D2890052 00011903
	s_lshr_b32 s61, s82, 24                                    // 000000009CD4: 8F3D9852
	s_and_b32 s82, s82, 0xffffff                               // 000000009CD8: 8652FF52 00FFFFFF
	s_mul_i32 s82, s82, s71                                    // 000000009CE0: 92524752
	s_mul_i32 s61, s60, s61                                    // 000000009CE4: 923D3D3C
	s_add_u32 s82, s82, s61                                    // 000000009CE8: 80523D52
	v_mul_lo_u32 v6, v5, s82                                   // 000000009CEC: D2850006 0000A505
	v_readlane_b32 s82, v3, 13                                 // 000000009CF4: D2890052 00011B03
	s_lshr_b32 s61, s82, 24                                    // 000000009CFC: 8F3D9852
	s_and_b32 s82, s82, 0xffffff                               // 000000009D00: 8652FF52 00FFFFFF
	s_mul_i32 s82, s82, s71                                    // 000000009D08: 92524752
	s_mul_i32 s61, s60, s61                                    // 000000009D0C: 923D3D3C
	s_add_u32 s82, s82, s61                                    // 000000009D10: 80523D52
	v_mul_lo_u32 v7, v4, s82                                   // 000000009D14: D2850007 0000A504
	v_add_u32_e32 v58, v6, v7                                  // 000000009D1C: 68740F06
	v_readlane_b32 s82, v3, 14                                 // 000000009D20: D2890052 00011D03
	s_lshr_b32 s61, s82, 24                                    // 000000009D28: 8F3D9852
	s_and_b32 s82, s82, 0xffffff                               // 000000009D2C: 8652FF52 00FFFFFF
	s_mul_i32 s82, s82, s71                                    // 000000009D34: 92524752
	s_mul_i32 s61, s60, s61                                    // 000000009D38: 923D3D3C
	s_add_u32 s82, s82, s61                                    // 000000009D3C: 80523D52
	v_mul_lo_u32 v6, v5, s82                                   // 000000009D40: D2850006 0000A505
	v_readlane_b32 s82, v3, 15                                 // 000000009D48: D2890052 00011F03
	s_lshr_b32 s61, s82, 24                                    // 000000009D50: 8F3D9852
	s_and_b32 s82, s82, 0xffffff                               // 000000009D54: 8652FF52 00FFFFFF
	s_mul_i32 s82, s82, s71                                    // 000000009D5C: 92524752
	s_mul_i32 s61, s60, s61                                    // 000000009D60: 923D3D3C
	s_add_u32 s82, s82, s61                                    // 000000009D64: 80523D52
	v_mul_lo_u32 v7, v4, s82                                   // 000000009D68: D2850007 0000A504
	v_add_u32_e32 v59, v6, v7                                  // 000000009D70: 68760F06
	v_readlane_b32 s82, v3, 16                                 // 000000009D74: D2890052 00012103
	s_lshr_b32 s61, s82, 24                                    // 000000009D7C: 8F3D9852
	s_and_b32 s82, s82, 0xffffff                               // 000000009D80: 8652FF52 00FFFFFF
	s_mul_i32 s82, s82, s71                                    // 000000009D88: 92524752
	s_mul_i32 s61, s60, s61                                    // 000000009D8C: 923D3D3C
	s_add_u32 s82, s82, s61                                    // 000000009D90: 80523D52
	v_mul_lo_u32 v6, v5, s82                                   // 000000009D94: D2850006 0000A505
	v_readlane_b32 s82, v3, 17                                 // 000000009D9C: D2890052 00012303
	s_lshr_b32 s61, s82, 24                                    // 000000009DA4: 8F3D9852
	s_and_b32 s82, s82, 0xffffff                               // 000000009DA8: 8652FF52 00FFFFFF
	s_mul_i32 s82, s82, s71                                    // 000000009DB0: 92524752
	s_mul_i32 s61, s60, s61                                    // 000000009DB4: 923D3D3C
	s_add_u32 s82, s82, s61                                    // 000000009DB8: 80523D52
	v_mul_lo_u32 v7, v4, s82                                   // 000000009DBC: D2850007 0000A504
	v_add_u32_e32 v60, v6, v7                                  // 000000009DC4: 68780F06
	v_readlane_b32 s82, v3, 18                                 // 000000009DC8: D2890052 00012503
	s_lshr_b32 s61, s82, 24                                    // 000000009DD0: 8F3D9852
	s_and_b32 s82, s82, 0xffffff                               // 000000009DD4: 8652FF52 00FFFFFF
	s_mul_i32 s82, s82, s71                                    // 000000009DDC: 92524752
	s_mul_i32 s61, s60, s61                                    // 000000009DE0: 923D3D3C
	s_add_u32 s82, s82, s61                                    // 000000009DE4: 80523D52
	v_mul_lo_u32 v6, v5, s82                                   // 000000009DE8: D2850006 0000A505
	v_readlane_b32 s82, v3, 19                                 // 000000009DF0: D2890052 00012703
	s_lshr_b32 s61, s82, 24                                    // 000000009DF8: 8F3D9852
	s_and_b32 s82, s82, 0xffffff                               // 000000009DFC: 8652FF52 00FFFFFF
	s_mul_i32 s82, s82, s71                                    // 000000009E04: 92524752
	s_mul_i32 s61, s60, s61                                    // 000000009E08: 923D3D3C
	s_add_u32 s82, s82, s61                                    // 000000009E0C: 80523D52
	v_mul_lo_u32 v7, v4, s82                                   // 000000009E10: D2850007 0000A504
	v_add_u32_e32 v61, v6, v7                                  // 000000009E18: 687A0F06
	v_readlane_b32 s82, v3, 20                                 // 000000009E1C: D2890052 00012903
	s_lshr_b32 s61, s82, 24                                    // 000000009E24: 8F3D9852
	s_and_b32 s82, s82, 0xffffff                               // 000000009E28: 8652FF52 00FFFFFF
	s_mul_i32 s82, s82, s71                                    // 000000009E30: 92524752
	s_mul_i32 s61, s60, s61                                    // 000000009E34: 923D3D3C
	s_add_u32 s82, s82, s61                                    // 000000009E38: 80523D52
	v_mul_lo_u32 v6, v5, s82                                   // 000000009E3C: D2850006 0000A505
	v_readlane_b32 s82, v3, 21                                 // 000000009E44: D2890052 00012B03
	s_lshr_b32 s61, s82, 24                                    // 000000009E4C: 8F3D9852
	s_and_b32 s82, s82, 0xffffff                               // 000000009E50: 8652FF52 00FFFFFF
	s_mul_i32 s82, s82, s71                                    // 000000009E58: 92524752
	s_mul_i32 s61, s60, s61                                    // 000000009E5C: 923D3D3C
	s_add_u32 s82, s82, s61                                    // 000000009E60: 80523D52
	v_mul_lo_u32 v7, v4, s82                                   // 000000009E64: D2850007 0000A504
	v_add_u32_e32 v62, v6, v7                                  // 000000009E6C: 687C0F06
	v_readlane_b32 s82, v3, 22                                 // 000000009E70: D2890052 00012D03
	s_lshr_b32 s61, s82, 24                                    // 000000009E78: 8F3D9852
	s_and_b32 s82, s82, 0xffffff                               // 000000009E7C: 8652FF52 00FFFFFF
	s_mul_i32 s82, s82, s71                                    // 000000009E84: 92524752
	s_mul_i32 s61, s60, s61                                    // 000000009E88: 923D3D3C
	s_add_u32 s82, s82, s61                                    // 000000009E8C: 80523D52
	v_mul_lo_u32 v6, v5, s82                                   // 000000009E90: D2850006 0000A505
	v_readlane_b32 s82, v3, 23                                 // 000000009E98: D2890052 00012F03
	s_lshr_b32 s61, s82, 24                                    // 000000009EA0: 8F3D9852
	s_and_b32 s82, s82, 0xffffff                               // 000000009EA4: 8652FF52 00FFFFFF
	s_mul_i32 s82, s82, s71                                    // 000000009EAC: 92524752
	s_mul_i32 s61, s60, s61                                    // 000000009EB0: 923D3D3C
	s_add_u32 s82, s82, s61                                    // 000000009EB4: 80523D52
	v_mul_lo_u32 v7, v4, s82                                   // 000000009EB8: D2850007 0000A504
	v_add_u32_e32 v63, v6, v7                                  // 000000009EC0: 687E0F06
	v_and_b32_e32 v4, 31, v0                                   // 000000009EC4: 2608009F
	v_lshrrev_b32_e32 v4, 1, v4                                // 000000009EC8: 20080881
	s_cmp_eq_u32 s88, 0                                        // 000000009ECC: BF068058
	s_cselect_b32 s61, 2, 4                                    // 000000009ED0: 853D8482
	v_mul_lo_u32 v4, v4, s61                                   // 000000009ED4: D2850004 00007B04
	v_and_b32_e64 v5, v0, 1                                    // 000000009EDC: D1130005 00010300
	v_add_u32_e32 v4, v4, v5                                   // 000000009EE4: 68080B04
	v_lshlrev_b32_e32 v4, 2, v4                                // 000000009EE8: 24080882
	v_add_u32_e32 v52, v52, v4                                 // 000000009EEC: 68680934
	v_add_u32_e32 v53, v53, v4                                 // 000000009EF0: 686A0935
	v_add_u32_e32 v54, v54, v4                                 // 000000009EF4: 686C0936
	v_add_u32_e32 v55, v55, v4                                 // 000000009EF8: 686E0937
	v_add_u32_e32 v56, v56, v4                                 // 000000009EFC: 68700938
	v_add_u32_e32 v57, v57, v4                                 // 000000009F00: 68720939
	v_add_u32_e32 v58, v58, v4                                 // 000000009F04: 6874093A
	v_add_u32_e32 v59, v59, v4                                 // 000000009F08: 6876093B
	v_add_u32_e32 v60, v60, v4                                 // 000000009F0C: 6878093C
	v_add_u32_e32 v61, v61, v4                                 // 000000009F10: 687A093D
	v_add_u32_e32 v62, v62, v4                                 // 000000009F14: 687C093E
	v_add_u32_e32 v63, v63, v4                                 // 000000009F18: 687E093F
	s_waitcnt lgkmcnt(0)                                       // 000000009F1C: BF8CC07F
	s_barrier                                                  // 000000009F20: BF8A0000
	ds_read_b32 v68, v21                                       // 000000009F24: D86C0000 44000015
	ds_read_b32 v69, v21 offset:64                             // 000000009F2C: D86C0040 45000015
	ds_read_b32 v70, v21 offset:2176                           // 000000009F34: D86C0880 46000015
	ds_read_b32 v71, v21 offset:2240                           // 000000009F3C: D86C08C0 47000015
	ds_read_b32 v72, v21 offset:4352                           // 000000009F44: D86C1100 48000015
	ds_read_b32 v73, v21 offset:4416                           // 000000009F4C: D86C1140 49000015
	ds_read_b32 v74, v21 offset:6528                           // 000000009F54: D86C1980 4A000015
	ds_read_b32 v75, v21 offset:6592                           // 000000009F5C: D86C19C0 4B000015
	ds_read_b32 v76, v21 offset:8704                           // 000000009F64: D86C2200 4C000015
	ds_read_b32 v77, v21 offset:8768                           // 000000009F6C: D86C2240 4D000015
	ds_read_b32 v78, v21 offset:10880                          // 000000009F74: D86C2A80 4E000015
	ds_read_b32 v79, v21 offset:10944                          // 000000009F7C: D86C2AC0 4F000015
	ds_read_b32 v80, v21 offset:13056                          // 000000009F84: D86C3300 50000015
	ds_read_b32 v81, v21 offset:13120                          // 000000009F8C: D86C3340 51000015
	ds_read_b32 v82, v21 offset:15232                          // 000000009F94: D86C3B80 52000015
	ds_read_b32 v83, v21 offset:15296                          // 000000009F9C: D86C3BC0 53000015
	ds_read_b32 v84, v21 offset:17408                          // 000000009FA4: D86C4400 54000015
	ds_read_b32 v85, v21 offset:17472                          // 000000009FAC: D86C4440 55000015
	ds_read_b32 v86, v21 offset:19584                          // 000000009FB4: D86C4C80 56000015
	ds_read_b32 v87, v21 offset:19648                          // 000000009FBC: D86C4CC0 57000015
	ds_read_b32 v88, v21 offset:21760                          // 000000009FC4: D86C5500 58000015
	ds_read_b32 v89, v21 offset:21824                          // 000000009FCC: D86C5540 59000015
	ds_read_b32 v90, v21 offset:23936                          // 000000009FD4: D86C5D80 5A000015
	ds_read_b32 v91, v21 offset:24000                          // 000000009FDC: D86C5DC0 5B000015
	s_waitcnt lgkmcnt(0)                                       // 000000009FE4: BF8CC07F
	s_mov_b32 s36, -1                                          // 000000009FE8: BEA400C1
	s_mov_b32 s37, -1                                          // 000000009FEC: BEA500C1
	v_mov_b32_e32 v7, 0                                        // 000000009FF0: 7E0E0280
	s_or_b32 s9, s9, 0x40000                                   // 000000009FF4: 8709FF09 00040000
	s_mov_b64 exec, s[36:37]                                   // 000000009FFC: BEFE0124
	v_mov_b32_e32 v6, v52                                      // 00000000A000: 7E0C0334
	s_mov_b64 s[60:61], 0                                      // 00000000A004: BEBC0180
	v_readlane_b32 s82, v3, 0                                  // 00000000A008: D2890052 00010103
	s_and_b32 s82, s82, 0xffffff                               // 00000000A010: 8652FF52 00FFFFFF
	s_cmp_lt_u32 s82, s66                                      // 00000000A018: BF0A4252
	s_cselect_b32 s20, s36, s60                                // 00000000A01C: 85143C24
	v_readlane_b32 s82, v3, 1                                  // 00000000A020: D2890052 00010303
	s_and_b32 s82, s82, 0xffffff                               // 00000000A028: 8652FF52 00FFFFFF
	s_cmp_lt_u32 s82, s66                                      // 00000000A030: BF0A4252
	s_cselect_b32 s21, s36, s60                                // 00000000A034: 85153C24
	s_mov_b64 exec, s[20:21]                                   // 00000000A038: BEFE0114
	buffer_store_dword v68, v6, s[8:11], 0 offen               // 00000000A03C: E0701000 80024406
	buffer_store_dword v70, v6, s[8:11], 0 offen offset:128    // 00000000A044: E0701080 80024606
	s_mov_b64 exec, s[36:37]                                   // 00000000A04C: BEFE0124
	v_mov_b32_e32 v6, v53                                      // 00000000A050: 7E0C0335
	s_mov_b64 s[60:61], 0                                      // 00000000A054: BEBC0180
	v_readlane_b32 s82, v3, 2                                  // 00000000A058: D2890052 00010503
	s_and_b32 s82, s82, 0xffffff                               // 00000000A060: 8652FF52 00FFFFFF
	s_cmp_lt_u32 s82, s66                                      // 00000000A068: BF0A4252
	s_cselect_b32 s20, s36, s60                                // 00000000A06C: 85143C24
	v_readlane_b32 s82, v3, 3                                  // 00000000A070: D2890052 00010703
	s_and_b32 s82, s82, 0xffffff                               // 00000000A078: 8652FF52 00FFFFFF
	s_cmp_lt_u32 s82, s66                                      // 00000000A080: BF0A4252
	s_cselect_b32 s21, s36, s60                                // 00000000A084: 85153C24
	s_mov_b64 exec, s[20:21]                                   // 00000000A088: BEFE0114
	buffer_store_dword v69, v6, s[8:11], 0 offen               // 00000000A08C: E0701000 80024506
	buffer_store_dword v71, v6, s[8:11], 0 offen offset:128    // 00000000A094: E0701080 80024706
	s_mov_b64 exec, s[36:37]                                   // 00000000A09C: BEFE0124
	v_mov_b32_e32 v6, v54                                      // 00000000A0A0: 7E0C0336
	s_mov_b64 s[60:61], 0                                      // 00000000A0A4: BEBC0180
	v_readlane_b32 s82, v3, 4                                  // 00000000A0A8: D2890052 00010903
	s_and_b32 s82, s82, 0xffffff                               // 00000000A0B0: 8652FF52 00FFFFFF
	s_cmp_lt_u32 s82, s66                                      // 00000000A0B8: BF0A4252
	s_cselect_b32 s20, s36, s60                                // 00000000A0BC: 85143C24
	v_readlane_b32 s82, v3, 5                                  // 00000000A0C0: D2890052 00010B03
	s_and_b32 s82, s82, 0xffffff                               // 00000000A0C8: 8652FF52 00FFFFFF
	s_cmp_lt_u32 s82, s66                                      // 00000000A0D0: BF0A4252
	s_cselect_b32 s21, s36, s60                                // 00000000A0D4: 85153C24
	s_mov_b64 exec, s[20:21]                                   // 00000000A0D8: BEFE0114
	buffer_store_dword v72, v6, s[8:11], 0 offen               // 00000000A0DC: E0701000 80024806
	buffer_store_dword v74, v6, s[8:11], 0 offen offset:128    // 00000000A0E4: E0701080 80024A06
	s_mov_b64 exec, s[36:37]                                   // 00000000A0EC: BEFE0124
	v_mov_b32_e32 v6, v55                                      // 00000000A0F0: 7E0C0337
	s_mov_b64 s[60:61], 0                                      // 00000000A0F4: BEBC0180
	v_readlane_b32 s82, v3, 6                                  // 00000000A0F8: D2890052 00010D03
	s_and_b32 s82, s82, 0xffffff                               // 00000000A100: 8652FF52 00FFFFFF
	s_cmp_lt_u32 s82, s66                                      // 00000000A108: BF0A4252
	s_cselect_b32 s20, s36, s60                                // 00000000A10C: 85143C24
	v_readlane_b32 s82, v3, 7                                  // 00000000A110: D2890052 00010F03
	s_and_b32 s82, s82, 0xffffff                               // 00000000A118: 8652FF52 00FFFFFF
	s_cmp_lt_u32 s82, s66                                      // 00000000A120: BF0A4252
	s_cselect_b32 s21, s36, s60                                // 00000000A124: 85153C24
	s_mov_b64 exec, s[20:21]                                   // 00000000A128: BEFE0114
	buffer_store_dword v73, v6, s[8:11], 0 offen               // 00000000A12C: E0701000 80024906
	buffer_store_dword v75, v6, s[8:11], 0 offen offset:128    // 00000000A134: E0701080 80024B06
	s_mov_b64 exec, s[36:37]                                   // 00000000A13C: BEFE0124
	v_mov_b32_e32 v6, v56                                      // 00000000A140: 7E0C0338
	s_mov_b64 s[60:61], 0                                      // 00000000A144: BEBC0180
	v_readlane_b32 s82, v3, 8                                  // 00000000A148: D2890052 00011103
	s_and_b32 s82, s82, 0xffffff                               // 00000000A150: 8652FF52 00FFFFFF
	s_cmp_lt_u32 s82, s66                                      // 00000000A158: BF0A4252
	s_cselect_b32 s20, s36, s60                                // 00000000A15C: 85143C24
	v_readlane_b32 s82, v3, 9                                  // 00000000A160: D2890052 00011303
	s_and_b32 s82, s82, 0xffffff                               // 00000000A168: 8652FF52 00FFFFFF
	s_cmp_lt_u32 s82, s66                                      // 00000000A170: BF0A4252
	s_cselect_b32 s21, s36, s60                                // 00000000A174: 85153C24
	s_mov_b64 exec, s[20:21]                                   // 00000000A178: BEFE0114
	buffer_store_dword v76, v6, s[8:11], 0 offen               // 00000000A17C: E0701000 80024C06
	buffer_store_dword v78, v6, s[8:11], 0 offen offset:128    // 00000000A184: E0701080 80024E06
	s_mov_b64 exec, s[36:37]                                   // 00000000A18C: BEFE0124
	v_mov_b32_e32 v6, v57                                      // 00000000A190: 7E0C0339
	s_mov_b64 s[60:61], 0                                      // 00000000A194: BEBC0180
	v_readlane_b32 s82, v3, 10                                 // 00000000A198: D2890052 00011503
	s_and_b32 s82, s82, 0xffffff                               // 00000000A1A0: 8652FF52 00FFFFFF
	s_cmp_lt_u32 s82, s66                                      // 00000000A1A8: BF0A4252
	s_cselect_b32 s20, s36, s60                                // 00000000A1AC: 85143C24
	v_readlane_b32 s82, v3, 11                                 // 00000000A1B0: D2890052 00011703
	s_and_b32 s82, s82, 0xffffff                               // 00000000A1B8: 8652FF52 00FFFFFF
	s_cmp_lt_u32 s82, s66                                      // 00000000A1C0: BF0A4252
	s_cselect_b32 s21, s36, s60                                // 00000000A1C4: 85153C24
	s_mov_b64 exec, s[20:21]                                   // 00000000A1C8: BEFE0114
	buffer_store_dword v77, v6, s[8:11], 0 offen               // 00000000A1CC: E0701000 80024D06
	buffer_store_dword v79, v6, s[8:11], 0 offen offset:128    // 00000000A1D4: E0701080 80024F06
	s_mov_b64 exec, s[36:37]                                   // 00000000A1DC: BEFE0124
	v_mov_b32_e32 v6, v58                                      // 00000000A1E0: 7E0C033A
	s_mov_b64 s[60:61], 0                                      // 00000000A1E4: BEBC0180
	v_readlane_b32 s82, v3, 12                                 // 00000000A1E8: D2890052 00011903
	s_and_b32 s82, s82, 0xffffff                               // 00000000A1F0: 8652FF52 00FFFFFF
	s_cmp_lt_u32 s82, s66                                      // 00000000A1F8: BF0A4252
	s_cselect_b32 s20, s36, s60                                // 00000000A1FC: 85143C24
	v_readlane_b32 s82, v3, 13                                 // 00000000A200: D2890052 00011B03
	s_and_b32 s82, s82, 0xffffff                               // 00000000A208: 8652FF52 00FFFFFF
	s_cmp_lt_u32 s82, s66                                      // 00000000A210: BF0A4252
	s_cselect_b32 s21, s36, s60                                // 00000000A214: 85153C24
	s_mov_b64 exec, s[20:21]                                   // 00000000A218: BEFE0114
	buffer_store_dword v80, v6, s[8:11], 0 offen               // 00000000A21C: E0701000 80025006
	buffer_store_dword v82, v6, s[8:11], 0 offen offset:128    // 00000000A224: E0701080 80025206
	s_mov_b64 exec, s[36:37]                                   // 00000000A22C: BEFE0124
	v_mov_b32_e32 v6, v59                                      // 00000000A230: 7E0C033B
	s_mov_b64 s[60:61], 0                                      // 00000000A234: BEBC0180
	v_readlane_b32 s82, v3, 14                                 // 00000000A238: D2890052 00011D03
	s_and_b32 s82, s82, 0xffffff                               // 00000000A240: 8652FF52 00FFFFFF
	s_cmp_lt_u32 s82, s66                                      // 00000000A248: BF0A4252
	s_cselect_b32 s20, s36, s60                                // 00000000A24C: 85143C24
	v_readlane_b32 s82, v3, 15                                 // 00000000A250: D2890052 00011F03
	s_and_b32 s82, s82, 0xffffff                               // 00000000A258: 8652FF52 00FFFFFF
	s_cmp_lt_u32 s82, s66                                      // 00000000A260: BF0A4252
	s_cselect_b32 s21, s36, s60                                // 00000000A264: 85153C24
	s_mov_b64 exec, s[20:21]                                   // 00000000A268: BEFE0114
	buffer_store_dword v81, v6, s[8:11], 0 offen               // 00000000A26C: E0701000 80025106
	buffer_store_dword v83, v6, s[8:11], 0 offen offset:128    // 00000000A274: E0701080 80025306
	s_mov_b64 exec, s[36:37]                                   // 00000000A27C: BEFE0124
	v_mov_b32_e32 v6, v60                                      // 00000000A280: 7E0C033C
	s_mov_b64 s[60:61], 0                                      // 00000000A284: BEBC0180
	v_readlane_b32 s82, v3, 16                                 // 00000000A288: D2890052 00012103
	s_and_b32 s82, s82, 0xffffff                               // 00000000A290: 8652FF52 00FFFFFF
	s_cmp_lt_u32 s82, s66                                      // 00000000A298: BF0A4252
	s_cselect_b32 s20, s36, s60                                // 00000000A29C: 85143C24
	v_readlane_b32 s82, v3, 17                                 // 00000000A2A0: D2890052 00012303
	s_and_b32 s82, s82, 0xffffff                               // 00000000A2A8: 8652FF52 00FFFFFF
	s_cmp_lt_u32 s82, s66                                      // 00000000A2B0: BF0A4252
	s_cselect_b32 s21, s36, s60                                // 00000000A2B4: 85153C24
	s_mov_b64 exec, s[20:21]                                   // 00000000A2B8: BEFE0114
	buffer_store_dword v84, v6, s[8:11], 0 offen               // 00000000A2BC: E0701000 80025406
	buffer_store_dword v86, v6, s[8:11], 0 offen offset:128    // 00000000A2C4: E0701080 80025606
	s_mov_b64 exec, s[36:37]                                   // 00000000A2CC: BEFE0124
	v_mov_b32_e32 v6, v61                                      // 00000000A2D0: 7E0C033D
	s_mov_b64 s[60:61], 0                                      // 00000000A2D4: BEBC0180
	v_readlane_b32 s82, v3, 18                                 // 00000000A2D8: D2890052 00012503
	s_and_b32 s82, s82, 0xffffff                               // 00000000A2E0: 8652FF52 00FFFFFF
	s_cmp_lt_u32 s82, s66                                      // 00000000A2E8: BF0A4252
	s_cselect_b32 s20, s36, s60                                // 00000000A2EC: 85143C24
	v_readlane_b32 s82, v3, 19                                 // 00000000A2F0: D2890052 00012703
	s_and_b32 s82, s82, 0xffffff                               // 00000000A2F8: 8652FF52 00FFFFFF
	s_cmp_lt_u32 s82, s66                                      // 00000000A300: BF0A4252
	s_cselect_b32 s21, s36, s60                                // 00000000A304: 85153C24
	s_mov_b64 exec, s[20:21]                                   // 00000000A308: BEFE0114
	buffer_store_dword v85, v6, s[8:11], 0 offen               // 00000000A30C: E0701000 80025506
	buffer_store_dword v87, v6, s[8:11], 0 offen offset:128    // 00000000A314: E0701080 80025706
	s_mov_b64 exec, s[36:37]                                   // 00000000A31C: BEFE0124
	v_mov_b32_e32 v6, v62                                      // 00000000A320: 7E0C033E
	s_mov_b64 s[60:61], 0                                      // 00000000A324: BEBC0180
	v_readlane_b32 s82, v3, 20                                 // 00000000A328: D2890052 00012903
	s_and_b32 s82, s82, 0xffffff                               // 00000000A330: 8652FF52 00FFFFFF
	s_cmp_lt_u32 s82, s66                                      // 00000000A338: BF0A4252
	s_cselect_b32 s20, s36, s60                                // 00000000A33C: 85143C24
	v_readlane_b32 s82, v3, 21                                 // 00000000A340: D2890052 00012B03
	s_and_b32 s82, s82, 0xffffff                               // 00000000A348: 8652FF52 00FFFFFF
	s_cmp_lt_u32 s82, s66                                      // 00000000A350: BF0A4252
	s_cselect_b32 s21, s36, s60                                // 00000000A354: 85153C24
	s_mov_b64 exec, s[20:21]                                   // 00000000A358: BEFE0114
	buffer_store_dword v88, v6, s[8:11], 0 offen               // 00000000A35C: E0701000 80025806
	buffer_store_dword v90, v6, s[8:11], 0 offen offset:128    // 00000000A364: E0701080 80025A06
	s_mov_b64 exec, s[36:37]                                   // 00000000A36C: BEFE0124
	v_mov_b32_e32 v6, v63                                      // 00000000A370: 7E0C033F
	s_mov_b64 s[60:61], 0                                      // 00000000A374: BEBC0180
	v_readlane_b32 s82, v3, 22                                 // 00000000A378: D2890052 00012D03
	s_and_b32 s82, s82, 0xffffff                               // 00000000A380: 8652FF52 00FFFFFF
	s_cmp_lt_u32 s82, s66                                      // 00000000A388: BF0A4252
	s_cselect_b32 s20, s36, s60                                // 00000000A38C: 85143C24
	v_readlane_b32 s82, v3, 23                                 // 00000000A390: D2890052 00012F03
	s_and_b32 s82, s82, 0xffffff                               // 00000000A398: 8652FF52 00FFFFFF
	s_cmp_lt_u32 s82, s66                                      // 00000000A3A0: BF0A4252
	s_cselect_b32 s21, s36, s60                                // 00000000A3A4: 85153C24
	s_mov_b64 exec, s[20:21]                                   // 00000000A3A8: BEFE0114
	buffer_store_dword v89, v6, s[8:11], 0 offen               // 00000000A3AC: E0701000 80025906
	buffer_store_dword v91, v6, s[8:11], 0 offen offset:128    // 00000000A3B4: E0701080 80025B06
	s_mov_b64 exec, s[36:37]                                   // 00000000A3BC: BEFE0124
	s_branch label_2486                                        // 00000000A3C0: BF820612

000000000000a3c4 <label_1E74>:
	ds_write_b64 v20, v[68:69]                                 // 00000000A3C4: D89A0000 00004414
	ds_write_b64 v20, v[72:73] offset:4352                     // 00000000A3CC: D89A1100 00004814
	ds_write_b64 v20, v[76:77] offset:8704                     // 00000000A3D4: D89A2200 00004C14
	ds_write_b64 v20, v[80:81] offset:13056                    // 00000000A3DC: D89A3300 00005014
	ds_write_b64 v20, v[84:85] offset:17408                    // 00000000A3E4: D89A4400 00005414
	ds_write_b64 v20, v[88:89] offset:21760                    // 00000000A3EC: D89A5500 00005814
	ds_write_b64 v20, v[92:93] offset:2176                     // 00000000A3F4: D89A0880 00005C14
	ds_write_b64 v20, v[96:97] offset:6528                     // 00000000A3FC: D89A1980 00006014
	ds_write_b64 v20, v[100:101] offset:10880                  // 00000000A404: D89A2A80 00006414
	ds_write_b64 v20, v[104:105] offset:15232                  // 00000000A40C: D89A3B80 00006814
	ds_write_b64 v20, v[108:109] offset:19584                  // 00000000A414: D89A4C80 00006C14
	ds_write_b64 v20, v[112:113] offset:23936                  // 00000000A41C: D89A5D80 00007014
	v_lshrrev_b32_e32 v4, 5, v0                                // 00000000A424: 20080085
	v_xor_b32_e32 v5, 1, v4                                    // 00000000A428: 2A0A0881
	s_mul_i32 s60, s65, 2                                      // 00000000A42C: 923C8241
	s_cmp_eq_u32 s88, 0                                        // 00000000A430: BF068058
	s_cselect_b32 s61, 1, 4                                    // 00000000A434: 853D8481
	s_mul_i32 s60, s61, s60                                    // 00000000A438: 923C3C3D
	v_readlane_b32 s82, v3, 0                                  // 00000000A43C: D2890052 00010103
	s_lshr_b32 s61, s82, 24                                    // 00000000A444: 8F3D9852
	s_and_b32 s82, s82, 0xffffff                               // 00000000A448: 8652FF52 00FFFFFF
	s_mul_i32 s82, s82, s71                                    // 00000000A450: 92524752
	s_mul_i32 s61, s60, s61                                    // 00000000A454: 923D3D3C
	s_add_u32 s82, s82, s61                                    // 00000000A458: 80523D52
	v_mul_lo_u32 v6, v5, s82                                   // 00000000A45C: D2850006 0000A505
	v_readlane_b32 s82, v3, 1                                  // 00000000A464: D2890052 00010303
	s_lshr_b32 s61, s82, 24                                    // 00000000A46C: 8F3D9852
	s_and_b32 s82, s82, 0xffffff                               // 00000000A470: 8652FF52 00FFFFFF
	s_mul_i32 s82, s82, s71                                    // 00000000A478: 92524752
	s_mul_i32 s61, s60, s61                                    // 00000000A47C: 923D3D3C
	s_add_u32 s82, s82, s61                                    // 00000000A480: 80523D52
	v_mul_lo_u32 v7, v4, s82                                   // 00000000A484: D2850007 0000A504
	v_add_u32_e32 v52, v6, v7                                  // 00000000A48C: 68680F06
	v_readlane_b32 s82, v3, 2                                  // 00000000A490: D2890052 00010503
	s_lshr_b32 s61, s82, 24                                    // 00000000A498: 8F3D9852
	s_and_b32 s82, s82, 0xffffff                               // 00000000A49C: 8652FF52 00FFFFFF
	s_mul_i32 s82, s82, s71                                    // 00000000A4A4: 92524752
	s_mul_i32 s61, s60, s61                                    // 00000000A4A8: 923D3D3C
	s_add_u32 s82, s82, s61                                    // 00000000A4AC: 80523D52
	v_mul_lo_u32 v6, v5, s82                                   // 00000000A4B0: D2850006 0000A505
	v_readlane_b32 s82, v3, 3                                  // 00000000A4B8: D2890052 00010703
	s_lshr_b32 s61, s82, 24                                    // 00000000A4C0: 8F3D9852
	s_and_b32 s82, s82, 0xffffff                               // 00000000A4C4: 8652FF52 00FFFFFF
	s_mul_i32 s82, s82, s71                                    // 00000000A4CC: 92524752
	s_mul_i32 s61, s60, s61                                    // 00000000A4D0: 923D3D3C
	s_add_u32 s82, s82, s61                                    // 00000000A4D4: 80523D52
	v_mul_lo_u32 v7, v4, s82                                   // 00000000A4D8: D2850007 0000A504
	v_add_u32_e32 v53, v6, v7                                  // 00000000A4E0: 686A0F06
	v_readlane_b32 s82, v3, 4                                  // 00000000A4E4: D2890052 00010903
	s_lshr_b32 s61, s82, 24                                    // 00000000A4EC: 8F3D9852
	s_and_b32 s82, s82, 0xffffff                               // 00000000A4F0: 8652FF52 00FFFFFF
	s_mul_i32 s82, s82, s71                                    // 00000000A4F8: 92524752
	s_mul_i32 s61, s60, s61                                    // 00000000A4FC: 923D3D3C
	s_add_u32 s82, s82, s61                                    // 00000000A500: 80523D52
	v_mul_lo_u32 v6, v5, s82                                   // 00000000A504: D2850006 0000A505
	v_readlane_b32 s82, v3, 5                                  // 00000000A50C: D2890052 00010B03
	s_lshr_b32 s61, s82, 24                                    // 00000000A514: 8F3D9852
	s_and_b32 s82, s82, 0xffffff                               // 00000000A518: 8652FF52 00FFFFFF
	s_mul_i32 s82, s82, s71                                    // 00000000A520: 92524752
	s_mul_i32 s61, s60, s61                                    // 00000000A524: 923D3D3C
	s_add_u32 s82, s82, s61                                    // 00000000A528: 80523D52
	v_mul_lo_u32 v7, v4, s82                                   // 00000000A52C: D2850007 0000A504
	v_add_u32_e32 v54, v6, v7                                  // 00000000A534: 686C0F06
	v_readlane_b32 s82, v3, 6                                  // 00000000A538: D2890052 00010D03
	s_lshr_b32 s61, s82, 24                                    // 00000000A540: 8F3D9852
	s_and_b32 s82, s82, 0xffffff                               // 00000000A544: 8652FF52 00FFFFFF
	s_mul_i32 s82, s82, s71                                    // 00000000A54C: 92524752
	s_mul_i32 s61, s60, s61                                    // 00000000A550: 923D3D3C
	s_add_u32 s82, s82, s61                                    // 00000000A554: 80523D52
	v_mul_lo_u32 v6, v5, s82                                   // 00000000A558: D2850006 0000A505
	v_readlane_b32 s82, v3, 7                                  // 00000000A560: D2890052 00010F03
	s_lshr_b32 s61, s82, 24                                    // 00000000A568: 8F3D9852
	s_and_b32 s82, s82, 0xffffff                               // 00000000A56C: 8652FF52 00FFFFFF
	s_mul_i32 s82, s82, s71                                    // 00000000A574: 92524752
	s_mul_i32 s61, s60, s61                                    // 00000000A578: 923D3D3C
	s_add_u32 s82, s82, s61                                    // 00000000A57C: 80523D52
	v_mul_lo_u32 v7, v4, s82                                   // 00000000A580: D2850007 0000A504
	v_add_u32_e32 v55, v6, v7                                  // 00000000A588: 686E0F06
	v_readlane_b32 s82, v3, 8                                  // 00000000A58C: D2890052 00011103
	s_lshr_b32 s61, s82, 24                                    // 00000000A594: 8F3D9852
	s_and_b32 s82, s82, 0xffffff                               // 00000000A598: 8652FF52 00FFFFFF
	s_mul_i32 s82, s82, s71                                    // 00000000A5A0: 92524752
	s_mul_i32 s61, s60, s61                                    // 00000000A5A4: 923D3D3C
	s_add_u32 s82, s82, s61                                    // 00000000A5A8: 80523D52
	v_mul_lo_u32 v6, v5, s82                                   // 00000000A5AC: D2850006 0000A505
	v_readlane_b32 s82, v3, 9                                  // 00000000A5B4: D2890052 00011303
	s_lshr_b32 s61, s82, 24                                    // 00000000A5BC: 8F3D9852
	s_and_b32 s82, s82, 0xffffff                               // 00000000A5C0: 8652FF52 00FFFFFF
	s_mul_i32 s82, s82, s71                                    // 00000000A5C8: 92524752
	s_mul_i32 s61, s60, s61                                    // 00000000A5CC: 923D3D3C
	s_add_u32 s82, s82, s61                                    // 00000000A5D0: 80523D52
	v_mul_lo_u32 v7, v4, s82                                   // 00000000A5D4: D2850007 0000A504
	v_add_u32_e32 v56, v6, v7                                  // 00000000A5DC: 68700F06
	v_readlane_b32 s82, v3, 10                                 // 00000000A5E0: D2890052 00011503
	s_lshr_b32 s61, s82, 24                                    // 00000000A5E8: 8F3D9852
	s_and_b32 s82, s82, 0xffffff                               // 00000000A5EC: 8652FF52 00FFFFFF
	s_mul_i32 s82, s82, s71                                    // 00000000A5F4: 92524752
	s_mul_i32 s61, s60, s61                                    // 00000000A5F8: 923D3D3C
	s_add_u32 s82, s82, s61                                    // 00000000A5FC: 80523D52
	v_mul_lo_u32 v6, v5, s82                                   // 00000000A600: D2850006 0000A505
	v_readlane_b32 s82, v3, 11                                 // 00000000A608: D2890052 00011703
	s_lshr_b32 s61, s82, 24                                    // 00000000A610: 8F3D9852
	s_and_b32 s82, s82, 0xffffff                               // 00000000A614: 8652FF52 00FFFFFF
	s_mul_i32 s82, s82, s71                                    // 00000000A61C: 92524752
	s_mul_i32 s61, s60, s61                                    // 00000000A620: 923D3D3C
	s_add_u32 s82, s82, s61                                    // 00000000A624: 80523D52
	v_mul_lo_u32 v7, v4, s82                                   // 00000000A628: D2850007 0000A504
	v_add_u32_e32 v57, v6, v7                                  // 00000000A630: 68720F06
	v_readlane_b32 s82, v3, 12                                 // 00000000A634: D2890052 00011903
	s_lshr_b32 s61, s82, 24                                    // 00000000A63C: 8F3D9852
	s_and_b32 s82, s82, 0xffffff                               // 00000000A640: 8652FF52 00FFFFFF
	s_mul_i32 s82, s82, s71                                    // 00000000A648: 92524752
	s_mul_i32 s61, s60, s61                                    // 00000000A64C: 923D3D3C
	s_add_u32 s82, s82, s61                                    // 00000000A650: 80523D52
	v_mul_lo_u32 v6, v5, s82                                   // 00000000A654: D2850006 0000A505
	v_readlane_b32 s82, v3, 13                                 // 00000000A65C: D2890052 00011B03
	s_lshr_b32 s61, s82, 24                                    // 00000000A664: 8F3D9852
	s_and_b32 s82, s82, 0xffffff                               // 00000000A668: 8652FF52 00FFFFFF
	s_mul_i32 s82, s82, s71                                    // 00000000A670: 92524752
	s_mul_i32 s61, s60, s61                                    // 00000000A674: 923D3D3C
	s_add_u32 s82, s82, s61                                    // 00000000A678: 80523D52
	v_mul_lo_u32 v7, v4, s82                                   // 00000000A67C: D2850007 0000A504
	v_add_u32_e32 v58, v6, v7                                  // 00000000A684: 68740F06
	v_readlane_b32 s82, v3, 14                                 // 00000000A688: D2890052 00011D03
	s_lshr_b32 s61, s82, 24                                    // 00000000A690: 8F3D9852
	s_and_b32 s82, s82, 0xffffff                               // 00000000A694: 8652FF52 00FFFFFF
	s_mul_i32 s82, s82, s71                                    // 00000000A69C: 92524752
	s_mul_i32 s61, s60, s61                                    // 00000000A6A0: 923D3D3C
	s_add_u32 s82, s82, s61                                    // 00000000A6A4: 80523D52
	v_mul_lo_u32 v6, v5, s82                                   // 00000000A6A8: D2850006 0000A505
	v_readlane_b32 s82, v3, 15                                 // 00000000A6B0: D2890052 00011F03
	s_lshr_b32 s61, s82, 24                                    // 00000000A6B8: 8F3D9852
	s_and_b32 s82, s82, 0xffffff                               // 00000000A6BC: 8652FF52 00FFFFFF
	s_mul_i32 s82, s82, s71                                    // 00000000A6C4: 92524752
	s_mul_i32 s61, s60, s61                                    // 00000000A6C8: 923D3D3C
	s_add_u32 s82, s82, s61                                    // 00000000A6CC: 80523D52
	v_mul_lo_u32 v7, v4, s82                                   // 00000000A6D0: D2850007 0000A504
	v_add_u32_e32 v59, v6, v7                                  // 00000000A6D8: 68760F06
	v_readlane_b32 s82, v3, 16                                 // 00000000A6DC: D2890052 00012103
	s_lshr_b32 s61, s82, 24                                    // 00000000A6E4: 8F3D9852
	s_and_b32 s82, s82, 0xffffff                               // 00000000A6E8: 8652FF52 00FFFFFF
	s_mul_i32 s82, s82, s71                                    // 00000000A6F0: 92524752
	s_mul_i32 s61, s60, s61                                    // 00000000A6F4: 923D3D3C
	s_add_u32 s82, s82, s61                                    // 00000000A6F8: 80523D52
	v_mul_lo_u32 v6, v5, s82                                   // 00000000A6FC: D2850006 0000A505
	v_readlane_b32 s82, v3, 17                                 // 00000000A704: D2890052 00012303
	s_lshr_b32 s61, s82, 24                                    // 00000000A70C: 8F3D9852
	s_and_b32 s82, s82, 0xffffff                               // 00000000A710: 8652FF52 00FFFFFF
	s_mul_i32 s82, s82, s71                                    // 00000000A718: 92524752
	s_mul_i32 s61, s60, s61                                    // 00000000A71C: 923D3D3C
	s_add_u32 s82, s82, s61                                    // 00000000A720: 80523D52
	v_mul_lo_u32 v7, v4, s82                                   // 00000000A724: D2850007 0000A504
	v_add_u32_e32 v60, v6, v7                                  // 00000000A72C: 68780F06
	v_readlane_b32 s82, v3, 18                                 // 00000000A730: D2890052 00012503
	s_lshr_b32 s61, s82, 24                                    // 00000000A738: 8F3D9852
	s_and_b32 s82, s82, 0xffffff                               // 00000000A73C: 8652FF52 00FFFFFF
	s_mul_i32 s82, s82, s71                                    // 00000000A744: 92524752
	s_mul_i32 s61, s60, s61                                    // 00000000A748: 923D3D3C
	s_add_u32 s82, s82, s61                                    // 00000000A74C: 80523D52
	v_mul_lo_u32 v6, v5, s82                                   // 00000000A750: D2850006 0000A505
	v_readlane_b32 s82, v3, 19                                 // 00000000A758: D2890052 00012703
	s_lshr_b32 s61, s82, 24                                    // 00000000A760: 8F3D9852
	s_and_b32 s82, s82, 0xffffff                               // 00000000A764: 8652FF52 00FFFFFF
	s_mul_i32 s82, s82, s71                                    // 00000000A76C: 92524752
	s_mul_i32 s61, s60, s61                                    // 00000000A770: 923D3D3C
	s_add_u32 s82, s82, s61                                    // 00000000A774: 80523D52
	v_mul_lo_u32 v7, v4, s82                                   // 00000000A778: D2850007 0000A504
	v_add_u32_e32 v61, v6, v7                                  // 00000000A780: 687A0F06
	v_readlane_b32 s82, v3, 20                                 // 00000000A784: D2890052 00012903
	s_lshr_b32 s61, s82, 24                                    // 00000000A78C: 8F3D9852
	s_and_b32 s82, s82, 0xffffff                               // 00000000A790: 8652FF52 00FFFFFF
	s_mul_i32 s82, s82, s71                                    // 00000000A798: 92524752
	s_mul_i32 s61, s60, s61                                    // 00000000A79C: 923D3D3C
	s_add_u32 s82, s82, s61                                    // 00000000A7A0: 80523D52
	v_mul_lo_u32 v6, v5, s82                                   // 00000000A7A4: D2850006 0000A505
	v_readlane_b32 s82, v3, 21                                 // 00000000A7AC: D2890052 00012B03
	s_lshr_b32 s61, s82, 24                                    // 00000000A7B4: 8F3D9852
	s_and_b32 s82, s82, 0xffffff                               // 00000000A7B8: 8652FF52 00FFFFFF
	s_mul_i32 s82, s82, s71                                    // 00000000A7C0: 92524752
	s_mul_i32 s61, s60, s61                                    // 00000000A7C4: 923D3D3C
	s_add_u32 s82, s82, s61                                    // 00000000A7C8: 80523D52
	v_mul_lo_u32 v7, v4, s82                                   // 00000000A7CC: D2850007 0000A504
	v_add_u32_e32 v62, v6, v7                                  // 00000000A7D4: 687C0F06
	v_readlane_b32 s82, v3, 22                                 // 00000000A7D8: D2890052 00012D03
	s_lshr_b32 s61, s82, 24                                    // 00000000A7E0: 8F3D9852
	s_and_b32 s82, s82, 0xffffff                               // 00000000A7E4: 8652FF52 00FFFFFF
	s_mul_i32 s82, s82, s71                                    // 00000000A7EC: 92524752
	s_mul_i32 s61, s60, s61                                    // 00000000A7F0: 923D3D3C
	s_add_u32 s82, s82, s61                                    // 00000000A7F4: 80523D52
	v_mul_lo_u32 v6, v5, s82                                   // 00000000A7F8: D2850006 0000A505
	v_readlane_b32 s82, v3, 23                                 // 00000000A800: D2890052 00012F03
	s_lshr_b32 s61, s82, 24                                    // 00000000A808: 8F3D9852
	s_and_b32 s82, s82, 0xffffff                               // 00000000A80C: 8652FF52 00FFFFFF
	s_mul_i32 s82, s82, s71                                    // 00000000A814: 92524752
	s_mul_i32 s61, s60, s61                                    // 00000000A818: 923D3D3C
	s_add_u32 s82, s82, s61                                    // 00000000A81C: 80523D52
	v_mul_lo_u32 v7, v4, s82                                   // 00000000A820: D2850007 0000A504
	v_add_u32_e32 v63, v6, v7                                  // 00000000A828: 687E0F06
	v_and_b32_e32 v4, 31, v0                                   // 00000000A82C: 2608009F
	v_lshrrev_b32_e32 v4, 1, v4                                // 00000000A830: 20080881
	s_cmp_eq_u32 s88, 0                                        // 00000000A834: BF068058
	s_cselect_b32 s61, 2, 4                                    // 00000000A838: 853D8482
	v_mul_lo_u32 v4, v4, s61                                   // 00000000A83C: D2850004 00007B04
	v_and_b32_e64 v5, v0, 1                                    // 00000000A844: D1130005 00010300
	v_add_u32_e32 v4, v4, v5                                   // 00000000A84C: 68080B04
	v_lshlrev_b32_e32 v4, 2, v4                                // 00000000A850: 24080882
	v_add_u32_e32 v52, v52, v4                                 // 00000000A854: 68680934
	v_add_u32_e32 v53, v53, v4                                 // 00000000A858: 686A0935
	v_add_u32_e32 v54, v54, v4                                 // 00000000A85C: 686C0936
	v_add_u32_e32 v55, v55, v4                                 // 00000000A860: 686E0937
	v_add_u32_e32 v56, v56, v4                                 // 00000000A864: 68700938
	v_add_u32_e32 v57, v57, v4                                 // 00000000A868: 68720939
	v_add_u32_e32 v58, v58, v4                                 // 00000000A86C: 6874093A
	v_add_u32_e32 v59, v59, v4                                 // 00000000A870: 6876093B
	v_add_u32_e32 v60, v60, v4                                 // 00000000A874: 6878093C
	v_add_u32_e32 v61, v61, v4                                 // 00000000A878: 687A093D
	v_add_u32_e32 v62, v62, v4                                 // 00000000A87C: 687C093E
	v_add_u32_e32 v63, v63, v4                                 // 00000000A880: 687E093F
	s_waitcnt lgkmcnt(0)                                       // 00000000A884: BF8CC07F
	s_barrier                                                  // 00000000A888: BF8A0000
	ds_read_b32 v68, v21                                       // 00000000A88C: D86C0000 44000015
	ds_read_b32 v69, v21 offset:64                             // 00000000A894: D86C0040 45000015
	ds_read_b32 v72, v21 offset:2176                           // 00000000A89C: D86C0880 48000015
	ds_read_b32 v73, v21 offset:2240                           // 00000000A8A4: D86C08C0 49000015
	ds_read_b32 v76, v21 offset:4352                           // 00000000A8AC: D86C1100 4C000015
	ds_read_b32 v77, v21 offset:4416                           // 00000000A8B4: D86C1140 4D000015
	ds_read_b32 v80, v21 offset:6528                           // 00000000A8BC: D86C1980 50000015
	ds_read_b32 v81, v21 offset:6592                           // 00000000A8C4: D86C19C0 51000015
	ds_read_b32 v84, v21 offset:8704                           // 00000000A8CC: D86C2200 54000015
	ds_read_b32 v85, v21 offset:8768                           // 00000000A8D4: D86C2240 55000015
	ds_read_b32 v88, v21 offset:10880                          // 00000000A8DC: D86C2A80 58000015
	ds_read_b32 v89, v21 offset:10944                          // 00000000A8E4: D86C2AC0 59000015
	ds_read_b32 v92, v21 offset:13056                          // 00000000A8EC: D86C3300 5C000015
	ds_read_b32 v93, v21 offset:13120                          // 00000000A8F4: D86C3340 5D000015
	ds_read_b32 v96, v21 offset:15232                          // 00000000A8FC: D86C3B80 60000015
	ds_read_b32 v97, v21 offset:15296                          // 00000000A904: D86C3BC0 61000015
	ds_read_b32 v100, v21 offset:17408                         // 00000000A90C: D86C4400 64000015
	ds_read_b32 v101, v21 offset:17472                         // 00000000A914: D86C4440 65000015
	ds_read_b32 v104, v21 offset:19584                         // 00000000A91C: D86C4C80 68000015
	ds_read_b32 v105, v21 offset:19648                         // 00000000A924: D86C4CC0 69000015
	ds_read_b32 v108, v21 offset:21760                         // 00000000A92C: D86C5500 6C000015
	ds_read_b32 v109, v21 offset:21824                         // 00000000A934: D86C5540 6D000015
	ds_read_b32 v112, v21 offset:23936                         // 00000000A93C: D86C5D80 70000015
	ds_read_b32 v113, v21 offset:24000                         // 00000000A944: D86C5DC0 71000015
	s_waitcnt lgkmcnt(0)                                       // 00000000A94C: BF8CC07F
	s_mov_b32 s36, -1                                          // 00000000A950: BEA400C1
	s_mov_b32 s37, -1                                          // 00000000A954: BEA500C1
	v_mov_b32_e32 v7, 0                                        // 00000000A958: 7E0E0280
	s_mov_b64 exec, s[36:37]                                   // 00000000A95C: BEFE0124
	v_mov_b32_e32 v6, v52                                      // 00000000A960: 7E0C0334
	s_mov_b64 s[60:61], 0                                      // 00000000A964: BEBC0180
	v_readlane_b32 s82, v3, 0                                  // 00000000A968: D2890052 00010103
	s_and_b32 s82, s82, 0xffffff                               // 00000000A970: 8652FF52 00FFFFFF
	s_cmp_lt_u32 s82, s66                                      // 00000000A978: BF0A4252
	s_cselect_b32 s20, s36, s60                                // 00000000A97C: 85143C24
	v_readlane_b32 s82, v3, 1                                  // 00000000A980: D2890052 00010303
	s_and_b32 s82, s82, 0xffffff                               // 00000000A988: 8652FF52 00FFFFFF
	s_cmp_lt_u32 s82, s66                                      // 00000000A990: BF0A4252
	s_cselect_b32 s21, s36, s60                                // 00000000A994: 85153C24
	s_mov_b64 exec, s[20:21]                                   // 00000000A998: BEFE0114
	global_atomic_add_f32 v6, v68, s[8:9]                      // 00000000A99C: DD348000 00084406
	global_atomic_add_f32 v6, v72, s[8:9] offset:256           // 00000000A9A4: DD348100 00084806
	s_mov_b64 exec, s[36:37]                                   // 00000000A9AC: BEFE0124
	v_mov_b32_e32 v6, v53                                      // 00000000A9B0: 7E0C0335
	s_mov_b64 s[60:61], 0                                      // 00000000A9B4: BEBC0180
	v_readlane_b32 s82, v3, 2                                  // 00000000A9B8: D2890052 00010503
	s_and_b32 s82, s82, 0xffffff                               // 00000000A9C0: 8652FF52 00FFFFFF
	s_cmp_lt_u32 s82, s66                                      // 00000000A9C8: BF0A4252
	s_cselect_b32 s20, s36, s60                                // 00000000A9CC: 85143C24
	v_readlane_b32 s82, v3, 3                                  // 00000000A9D0: D2890052 00010703
	s_and_b32 s82, s82, 0xffffff                               // 00000000A9D8: 8652FF52 00FFFFFF
	s_cmp_lt_u32 s82, s66                                      // 00000000A9E0: BF0A4252
	s_cselect_b32 s21, s36, s60                                // 00000000A9E4: 85153C24
	s_mov_b64 exec, s[20:21]                                   // 00000000A9E8: BEFE0114
	global_atomic_add_f32 v6, v69, s[8:9]                      // 00000000A9EC: DD348000 00084506
	global_atomic_add_f32 v6, v73, s[8:9] offset:256           // 00000000A9F4: DD348100 00084906
	s_mov_b64 exec, s[36:37]                                   // 00000000A9FC: BEFE0124
	v_mov_b32_e32 v6, v54                                      // 00000000AA00: 7E0C0336
	s_mov_b64 s[60:61], 0                                      // 00000000AA04: BEBC0180
	v_readlane_b32 s82, v3, 4                                  // 00000000AA08: D2890052 00010903
	s_and_b32 s82, s82, 0xffffff                               // 00000000AA10: 8652FF52 00FFFFFF
	s_cmp_lt_u32 s82, s66                                      // 00000000AA18: BF0A4252
	s_cselect_b32 s20, s36, s60                                // 00000000AA1C: 85143C24
	v_readlane_b32 s82, v3, 5                                  // 00000000AA20: D2890052 00010B03
	s_and_b32 s82, s82, 0xffffff                               // 00000000AA28: 8652FF52 00FFFFFF
	s_cmp_lt_u32 s82, s66                                      // 00000000AA30: BF0A4252
	s_cselect_b32 s21, s36, s60                                // 00000000AA34: 85153C24
	s_mov_b64 exec, s[20:21]                                   // 00000000AA38: BEFE0114
	global_atomic_add_f32 v6, v76, s[8:9]                      // 00000000AA3C: DD348000 00084C06
	global_atomic_add_f32 v6, v80, s[8:9] offset:256           // 00000000AA44: DD348100 00085006
	s_mov_b64 exec, s[36:37]                                   // 00000000AA4C: BEFE0124
	v_mov_b32_e32 v6, v55                                      // 00000000AA50: 7E0C0337
	s_mov_b64 s[60:61], 0                                      // 00000000AA54: BEBC0180
	v_readlane_b32 s82, v3, 6                                  // 00000000AA58: D2890052 00010D03
	s_and_b32 s82, s82, 0xffffff                               // 00000000AA60: 8652FF52 00FFFFFF
	s_cmp_lt_u32 s82, s66                                      // 00000000AA68: BF0A4252
	s_cselect_b32 s20, s36, s60                                // 00000000AA6C: 85143C24
	v_readlane_b32 s82, v3, 7                                  // 00000000AA70: D2890052 00010F03
	s_and_b32 s82, s82, 0xffffff                               // 00000000AA78: 8652FF52 00FFFFFF
	s_cmp_lt_u32 s82, s66                                      // 00000000AA80: BF0A4252
	s_cselect_b32 s21, s36, s60                                // 00000000AA84: 85153C24
	s_mov_b64 exec, s[20:21]                                   // 00000000AA88: BEFE0114
	global_atomic_add_f32 v6, v77, s[8:9]                      // 00000000AA8C: DD348000 00084D06
	global_atomic_add_f32 v6, v81, s[8:9] offset:256           // 00000000AA94: DD348100 00085106
	s_mov_b64 exec, s[36:37]                                   // 00000000AA9C: BEFE0124
	v_mov_b32_e32 v6, v56                                      // 00000000AAA0: 7E0C0338
	s_mov_b64 s[60:61], 0                                      // 00000000AAA4: BEBC0180
	v_readlane_b32 s82, v3, 8                                  // 00000000AAA8: D2890052 00011103
	s_and_b32 s82, s82, 0xffffff                               // 00000000AAB0: 8652FF52 00FFFFFF
	s_cmp_lt_u32 s82, s66                                      // 00000000AAB8: BF0A4252
	s_cselect_b32 s20, s36, s60                                // 00000000AABC: 85143C24
	v_readlane_b32 s82, v3, 9                                  // 00000000AAC0: D2890052 00011303
	s_and_b32 s82, s82, 0xffffff                               // 00000000AAC8: 8652FF52 00FFFFFF
	s_cmp_lt_u32 s82, s66                                      // 00000000AAD0: BF0A4252
	s_cselect_b32 s21, s36, s60                                // 00000000AAD4: 85153C24
	s_mov_b64 exec, s[20:21]                                   // 00000000AAD8: BEFE0114
	global_atomic_add_f32 v6, v84, s[8:9]                      // 00000000AADC: DD348000 00085406
	global_atomic_add_f32 v6, v88, s[8:9] offset:256           // 00000000AAE4: DD348100 00085806
	s_mov_b64 exec, s[36:37]                                   // 00000000AAEC: BEFE0124
	v_mov_b32_e32 v6, v57                                      // 00000000AAF0: 7E0C0339
	s_mov_b64 s[60:61], 0                                      // 00000000AAF4: BEBC0180
	v_readlane_b32 s82, v3, 10                                 // 00000000AAF8: D2890052 00011503
	s_and_b32 s82, s82, 0xffffff                               // 00000000AB00: 8652FF52 00FFFFFF
	s_cmp_lt_u32 s82, s66                                      // 00000000AB08: BF0A4252
	s_cselect_b32 s20, s36, s60                                // 00000000AB0C: 85143C24
	v_readlane_b32 s82, v3, 11                                 // 00000000AB10: D2890052 00011703
	s_and_b32 s82, s82, 0xffffff                               // 00000000AB18: 8652FF52 00FFFFFF
	s_cmp_lt_u32 s82, s66                                      // 00000000AB20: BF0A4252
	s_cselect_b32 s21, s36, s60                                // 00000000AB24: 85153C24
	s_mov_b64 exec, s[20:21]                                   // 00000000AB28: BEFE0114
	global_atomic_add_f32 v6, v85, s[8:9]                      // 00000000AB2C: DD348000 00085506
	global_atomic_add_f32 v6, v89, s[8:9] offset:256           // 00000000AB34: DD348100 00085906
	s_mov_b64 exec, s[36:37]                                   // 00000000AB3C: BEFE0124
	v_mov_b32_e32 v6, v58                                      // 00000000AB40: 7E0C033A
	s_mov_b64 s[60:61], 0                                      // 00000000AB44: BEBC0180
	v_readlane_b32 s82, v3, 12                                 // 00000000AB48: D2890052 00011903
	s_and_b32 s82, s82, 0xffffff                               // 00000000AB50: 8652FF52 00FFFFFF
	s_cmp_lt_u32 s82, s66                                      // 00000000AB58: BF0A4252
	s_cselect_b32 s20, s36, s60                                // 00000000AB5C: 85143C24
	v_readlane_b32 s82, v3, 13                                 // 00000000AB60: D2890052 00011B03
	s_and_b32 s82, s82, 0xffffff                               // 00000000AB68: 8652FF52 00FFFFFF
	s_cmp_lt_u32 s82, s66                                      // 00000000AB70: BF0A4252
	s_cselect_b32 s21, s36, s60                                // 00000000AB74: 85153C24
	s_mov_b64 exec, s[20:21]                                   // 00000000AB78: BEFE0114
	global_atomic_add_f32 v6, v92, s[8:9]                      // 00000000AB7C: DD348000 00085C06
	global_atomic_add_f32 v6, v96, s[8:9] offset:256           // 00000000AB84: DD348100 00086006
	s_mov_b64 exec, s[36:37]                                   // 00000000AB8C: BEFE0124
	v_mov_b32_e32 v6, v59                                      // 00000000AB90: 7E0C033B
	s_mov_b64 s[60:61], 0                                      // 00000000AB94: BEBC0180
	v_readlane_b32 s82, v3, 14                                 // 00000000AB98: D2890052 00011D03
	s_and_b32 s82, s82, 0xffffff                               // 00000000ABA0: 8652FF52 00FFFFFF
	s_cmp_lt_u32 s82, s66                                      // 00000000ABA8: BF0A4252
	s_cselect_b32 s20, s36, s60                                // 00000000ABAC: 85143C24
	v_readlane_b32 s82, v3, 15                                 // 00000000ABB0: D2890052 00011F03
	s_and_b32 s82, s82, 0xffffff                               // 00000000ABB8: 8652FF52 00FFFFFF
	s_cmp_lt_u32 s82, s66                                      // 00000000ABC0: BF0A4252
	s_cselect_b32 s21, s36, s60                                // 00000000ABC4: 85153C24
	s_mov_b64 exec, s[20:21]                                   // 00000000ABC8: BEFE0114
	global_atomic_add_f32 v6, v93, s[8:9]                      // 00000000ABCC: DD348000 00085D06
	global_atomic_add_f32 v6, v97, s[8:9] offset:256           // 00000000ABD4: DD348100 00086106
	s_mov_b64 exec, s[36:37]                                   // 00000000ABDC: BEFE0124
	v_mov_b32_e32 v6, v60                                      // 00000000ABE0: 7E0C033C
	s_mov_b64 s[60:61], 0                                      // 00000000ABE4: BEBC0180
	v_readlane_b32 s82, v3, 16                                 // 00000000ABE8: D2890052 00012103
	s_and_b32 s82, s82, 0xffffff                               // 00000000ABF0: 8652FF52 00FFFFFF
	s_cmp_lt_u32 s82, s66                                      // 00000000ABF8: BF0A4252
	s_cselect_b32 s20, s36, s60                                // 00000000ABFC: 85143C24
	v_readlane_b32 s82, v3, 17                                 // 00000000AC00: D2890052 00012303
	s_and_b32 s82, s82, 0xffffff                               // 00000000AC08: 8652FF52 00FFFFFF
	s_cmp_lt_u32 s82, s66                                      // 00000000AC10: BF0A4252
	s_cselect_b32 s21, s36, s60                                // 00000000AC14: 85153C24
	s_mov_b64 exec, s[20:21]                                   // 00000000AC18: BEFE0114
	global_atomic_add_f32 v6, v100, s[8:9]                     // 00000000AC1C: DD348000 00086406
	global_atomic_add_f32 v6, v104, s[8:9] offset:256          // 00000000AC24: DD348100 00086806
	s_mov_b64 exec, s[36:37]                                   // 00000000AC2C: BEFE0124
	v_mov_b32_e32 v6, v61                                      // 00000000AC30: 7E0C033D
	s_mov_b64 s[60:61], 0                                      // 00000000AC34: BEBC0180
	v_readlane_b32 s82, v3, 18                                 // 00000000AC38: D2890052 00012503
	s_and_b32 s82, s82, 0xffffff                               // 00000000AC40: 8652FF52 00FFFFFF
	s_cmp_lt_u32 s82, s66                                      // 00000000AC48: BF0A4252
	s_cselect_b32 s20, s36, s60                                // 00000000AC4C: 85143C24
	v_readlane_b32 s82, v3, 19                                 // 00000000AC50: D2890052 00012703
	s_and_b32 s82, s82, 0xffffff                               // 00000000AC58: 8652FF52 00FFFFFF
	s_cmp_lt_u32 s82, s66                                      // 00000000AC60: BF0A4252
	s_cselect_b32 s21, s36, s60                                // 00000000AC64: 85153C24
	s_mov_b64 exec, s[20:21]                                   // 00000000AC68: BEFE0114
	global_atomic_add_f32 v6, v101, s[8:9]                     // 00000000AC6C: DD348000 00086506
	global_atomic_add_f32 v6, v105, s[8:9] offset:256          // 00000000AC74: DD348100 00086906
	s_mov_b64 exec, s[36:37]                                   // 00000000AC7C: BEFE0124
	v_mov_b32_e32 v6, v62                                      // 00000000AC80: 7E0C033E
	s_mov_b64 s[60:61], 0                                      // 00000000AC84: BEBC0180
	v_readlane_b32 s82, v3, 20                                 // 00000000AC88: D2890052 00012903
	s_and_b32 s82, s82, 0xffffff                               // 00000000AC90: 8652FF52 00FFFFFF
	s_cmp_lt_u32 s82, s66                                      // 00000000AC98: BF0A4252
	s_cselect_b32 s20, s36, s60                                // 00000000AC9C: 85143C24
	v_readlane_b32 s82, v3, 21                                 // 00000000ACA0: D2890052 00012B03
	s_and_b32 s82, s82, 0xffffff                               // 00000000ACA8: 8652FF52 00FFFFFF
	s_cmp_lt_u32 s82, s66                                      // 00000000ACB0: BF0A4252
	s_cselect_b32 s21, s36, s60                                // 00000000ACB4: 85153C24
	s_mov_b64 exec, s[20:21]                                   // 00000000ACB8: BEFE0114
	global_atomic_add_f32 v6, v108, s[8:9]                     // 00000000ACBC: DD348000 00086C06
	global_atomic_add_f32 v6, v112, s[8:9] offset:256          // 00000000ACC4: DD348100 00087006
	s_mov_b64 exec, s[36:37]                                   // 00000000ACCC: BEFE0124
	v_mov_b32_e32 v6, v63                                      // 00000000ACD0: 7E0C033F
	s_mov_b64 s[60:61], 0                                      // 00000000ACD4: BEBC0180
	v_readlane_b32 s82, v3, 22                                 // 00000000ACD8: D2890052 00012D03
	s_and_b32 s82, s82, 0xffffff                               // 00000000ACE0: 8652FF52 00FFFFFF
	s_cmp_lt_u32 s82, s66                                      // 00000000ACE8: BF0A4252
	s_cselect_b32 s20, s36, s60                                // 00000000ACEC: 85143C24
	v_readlane_b32 s82, v3, 23                                 // 00000000ACF0: D2890052 00012F03
	s_and_b32 s82, s82, 0xffffff                               // 00000000ACF8: 8652FF52 00FFFFFF
	s_cmp_lt_u32 s82, s66                                      // 00000000AD00: BF0A4252
	s_cselect_b32 s21, s36, s60                                // 00000000AD04: 85153C24
	s_mov_b64 exec, s[20:21]                                   // 00000000AD08: BEFE0114
	global_atomic_add_f32 v6, v109, s[8:9]                     // 00000000AD0C: DD348000 00086D06
	global_atomic_add_f32 v6, v113, s[8:9] offset:256          // 00000000AD14: DD348100 00087106
	s_mov_b64 exec, s[36:37]                                   // 00000000AD1C: BEFE0124
	ds_write_b64 v20, v[70:71]                                 // 00000000AD20: D89A0000 00004614
	ds_write_b64 v20, v[74:75] offset:4352                     // 00000000AD28: D89A1100 00004A14
	ds_write_b64 v20, v[78:79] offset:8704                     // 00000000AD30: D89A2200 00004E14
	ds_write_b64 v20, v[82:83] offset:13056                    // 00000000AD38: D89A3300 00005214
	ds_write_b64 v20, v[86:87] offset:17408                    // 00000000AD40: D89A4400 00005614
	ds_write_b64 v20, v[90:91] offset:21760                    // 00000000AD48: D89A5500 00005A14
	ds_write_b64 v20, v[94:95] offset:2176                     // 00000000AD50: D89A0880 00005E14
	ds_write_b64 v20, v[98:99] offset:6528                     // 00000000AD58: D89A1980 00006214
	ds_write_b64 v20, v[102:103] offset:10880                  // 00000000AD60: D89A2A80 00006614
	ds_write_b64 v20, v[106:107] offset:15232                  // 00000000AD68: D89A3B80 00006A14
	ds_write_b64 v20, v[110:111] offset:19584                  // 00000000AD70: D89A4C80 00006E14
	ds_write_b64 v20, v[114:115] offset:23936                  // 00000000AD78: D89A5D80 00007214
	s_waitcnt lgkmcnt(0)                                       // 00000000AD80: BF8CC07F
	s_barrier                                                  // 00000000AD84: BF8A0000
	ds_read_b32 v70, v21                                       // 00000000AD88: D86C0000 46000015
	ds_read_b32 v71, v21 offset:64                             // 00000000AD90: D86C0040 47000015
	ds_read_b32 v74, v21 offset:2176                           // 00000000AD98: D86C0880 4A000015
	ds_read_b32 v75, v21 offset:2240                           // 00000000ADA0: D86C08C0 4B000015
	ds_read_b32 v78, v21 offset:4352                           // 00000000ADA8: D86C1100 4E000015
	ds_read_b32 v79, v21 offset:4416                           // 00000000ADB0: D86C1140 4F000015
	ds_read_b32 v82, v21 offset:6528                           // 00000000ADB8: D86C1980 52000015
	ds_read_b32 v83, v21 offset:6592                           // 00000000ADC0: D86C19C0 53000015
	ds_read_b32 v86, v21 offset:8704                           // 00000000ADC8: D86C2200 56000015
	ds_read_b32 v87, v21 offset:8768                           // 00000000ADD0: D86C2240 57000015
	ds_read_b32 v90, v21 offset:10880                          // 00000000ADD8: D86C2A80 5A000015
	ds_read_b32 v91, v21 offset:10944                          // 00000000ADE0: D86C2AC0 5B000015
	ds_read_b32 v94, v21 offset:13056                          // 00000000ADE8: D86C3300 5E000015
	ds_read_b32 v95, v21 offset:13120                          // 00000000ADF0: D86C3340 5F000015
	ds_read_b32 v98, v21 offset:15232                          // 00000000ADF8: D86C3B80 62000015
	ds_read_b32 v99, v21 offset:15296                          // 00000000AE00: D86C3BC0 63000015
	ds_read_b32 v102, v21 offset:17408                         // 00000000AE08: D86C4400 66000015
	ds_read_b32 v103, v21 offset:17472                         // 00000000AE10: D86C4440 67000015
	ds_read_b32 v106, v21 offset:19584                         // 00000000AE18: D86C4C80 6A000015
	ds_read_b32 v107, v21 offset:19648                         // 00000000AE20: D86C4CC0 6B000015
	ds_read_b32 v110, v21 offset:21760                         // 00000000AE28: D86C5500 6E000015
	ds_read_b32 v111, v21 offset:21824                         // 00000000AE30: D86C5540 6F000015
	ds_read_b32 v114, v21 offset:23936                         // 00000000AE38: D86C5D80 72000015
	ds_read_b32 v115, v21 offset:24000                         // 00000000AE40: D86C5DC0 73000015
	s_waitcnt lgkmcnt(0)                                       // 00000000AE48: BF8CC07F
	v_mov_b32_e32 v7, 0                                        // 00000000AE4C: 7E0E0280
	s_mov_b64 exec, s[36:37]                                   // 00000000AE50: BEFE0124
	v_mov_b32_e32 v6, v52                                      // 00000000AE54: 7E0C0334
	s_mov_b64 s[60:61], 0                                      // 00000000AE58: BEBC0180
	v_readlane_b32 s82, v3, 0                                  // 00000000AE5C: D2890052 00010103
	s_and_b32 s82, s82, 0xffffff                               // 00000000AE64: 8652FF52 00FFFFFF
	s_cmp_lt_u32 s82, s66                                      // 00000000AE6C: BF0A4252
	s_cselect_b32 s20, s36, s60                                // 00000000AE70: 85143C24
	v_readlane_b32 s82, v3, 1                                  // 00000000AE74: D2890052 00010303
	s_and_b32 s82, s82, 0xffffff                               // 00000000AE7C: 8652FF52 00FFFFFF
	s_cmp_lt_u32 s82, s66                                      // 00000000AE84: BF0A4252
	s_cselect_b32 s21, s36, s60                                // 00000000AE88: 85153C24
	s_mov_b64 exec, s[20:21]                                   // 00000000AE8C: BEFE0114
	global_atomic_add_f32 v6, v70, s[8:9] offset:8             // 00000000AE90: DD348008 00084606
	global_atomic_add_f32 v6, v74, s[8:9] offset:264           // 00000000AE98: DD348108 00084A06
	s_mov_b64 exec, s[36:37]                                   // 00000000AEA0: BEFE0124
	v_mov_b32_e32 v6, v53                                      // 00000000AEA4: 7E0C0335
	s_mov_b64 s[60:61], 0                                      // 00000000AEA8: BEBC0180
	v_readlane_b32 s82, v3, 2                                  // 00000000AEAC: D2890052 00010503
	s_and_b32 s82, s82, 0xffffff                               // 00000000AEB4: 8652FF52 00FFFFFF
	s_cmp_lt_u32 s82, s66                                      // 00000000AEBC: BF0A4252
	s_cselect_b32 s20, s36, s60                                // 00000000AEC0: 85143C24
	v_readlane_b32 s82, v3, 3                                  // 00000000AEC4: D2890052 00010703
	s_and_b32 s82, s82, 0xffffff                               // 00000000AECC: 8652FF52 00FFFFFF
	s_cmp_lt_u32 s82, s66                                      // 00000000AED4: BF0A4252
	s_cselect_b32 s21, s36, s60                                // 00000000AED8: 85153C24
	s_mov_b64 exec, s[20:21]                                   // 00000000AEDC: BEFE0114
	global_atomic_add_f32 v6, v71, s[8:9] offset:8             // 00000000AEE0: DD348008 00084706
	global_atomic_add_f32 v6, v75, s[8:9] offset:264           // 00000000AEE8: DD348108 00084B06
	s_mov_b64 exec, s[36:37]                                   // 00000000AEF0: BEFE0124
	v_mov_b32_e32 v6, v54                                      // 00000000AEF4: 7E0C0336
	s_mov_b64 s[60:61], 0                                      // 00000000AEF8: BEBC0180
	v_readlane_b32 s82, v3, 4                                  // 00000000AEFC: D2890052 00010903
	s_and_b32 s82, s82, 0xffffff                               // 00000000AF04: 8652FF52 00FFFFFF
	s_cmp_lt_u32 s82, s66                                      // 00000000AF0C: BF0A4252
	s_cselect_b32 s20, s36, s60                                // 00000000AF10: 85143C24
	v_readlane_b32 s82, v3, 5                                  // 00000000AF14: D2890052 00010B03
	s_and_b32 s82, s82, 0xffffff                               // 00000000AF1C: 8652FF52 00FFFFFF
	s_cmp_lt_u32 s82, s66                                      // 00000000AF24: BF0A4252
	s_cselect_b32 s21, s36, s60                                // 00000000AF28: 85153C24
	s_mov_b64 exec, s[20:21]                                   // 00000000AF2C: BEFE0114
	global_atomic_add_f32 v6, v78, s[8:9] offset:8             // 00000000AF30: DD348008 00084E06
	global_atomic_add_f32 v6, v82, s[8:9] offset:264           // 00000000AF38: DD348108 00085206
	s_mov_b64 exec, s[36:37]                                   // 00000000AF40: BEFE0124
	v_mov_b32_e32 v6, v55                                      // 00000000AF44: 7E0C0337
	s_mov_b64 s[60:61], 0                                      // 00000000AF48: BEBC0180
	v_readlane_b32 s82, v3, 6                                  // 00000000AF4C: D2890052 00010D03
	s_and_b32 s82, s82, 0xffffff                               // 00000000AF54: 8652FF52 00FFFFFF
	s_cmp_lt_u32 s82, s66                                      // 00000000AF5C: BF0A4252
	s_cselect_b32 s20, s36, s60                                // 00000000AF60: 85143C24
	v_readlane_b32 s82, v3, 7                                  // 00000000AF64: D2890052 00010F03
	s_and_b32 s82, s82, 0xffffff                               // 00000000AF6C: 8652FF52 00FFFFFF
	s_cmp_lt_u32 s82, s66                                      // 00000000AF74: BF0A4252
	s_cselect_b32 s21, s36, s60                                // 00000000AF78: 85153C24
	s_mov_b64 exec, s[20:21]                                   // 00000000AF7C: BEFE0114
	global_atomic_add_f32 v6, v79, s[8:9] offset:8             // 00000000AF80: DD348008 00084F06
	global_atomic_add_f32 v6, v83, s[8:9] offset:264           // 00000000AF88: DD348108 00085306
	s_mov_b64 exec, s[36:37]                                   // 00000000AF90: BEFE0124
	v_mov_b32_e32 v6, v56                                      // 00000000AF94: 7E0C0338
	s_mov_b64 s[60:61], 0                                      // 00000000AF98: BEBC0180
	v_readlane_b32 s82, v3, 8                                  // 00000000AF9C: D2890052 00011103
	s_and_b32 s82, s82, 0xffffff                               // 00000000AFA4: 8652FF52 00FFFFFF
	s_cmp_lt_u32 s82, s66                                      // 00000000AFAC: BF0A4252
	s_cselect_b32 s20, s36, s60                                // 00000000AFB0: 85143C24
	v_readlane_b32 s82, v3, 9                                  // 00000000AFB4: D2890052 00011303
	s_and_b32 s82, s82, 0xffffff                               // 00000000AFBC: 8652FF52 00FFFFFF
	s_cmp_lt_u32 s82, s66                                      // 00000000AFC4: BF0A4252
	s_cselect_b32 s21, s36, s60                                // 00000000AFC8: 85153C24
	s_mov_b64 exec, s[20:21]                                   // 00000000AFCC: BEFE0114
	global_atomic_add_f32 v6, v86, s[8:9] offset:8             // 00000000AFD0: DD348008 00085606
	global_atomic_add_f32 v6, v90, s[8:9] offset:264           // 00000000AFD8: DD348108 00085A06
	s_mov_b64 exec, s[36:37]                                   // 00000000AFE0: BEFE0124
	v_mov_b32_e32 v6, v57                                      // 00000000AFE4: 7E0C0339
	s_mov_b64 s[60:61], 0                                      // 00000000AFE8: BEBC0180
	v_readlane_b32 s82, v3, 10                                 // 00000000AFEC: D2890052 00011503
	s_and_b32 s82, s82, 0xffffff                               // 00000000AFF4: 8652FF52 00FFFFFF
	s_cmp_lt_u32 s82, s66                                      // 00000000AFFC: BF0A4252
	s_cselect_b32 s20, s36, s60                                // 00000000B000: 85143C24
	v_readlane_b32 s82, v3, 11                                 // 00000000B004: D2890052 00011703
	s_and_b32 s82, s82, 0xffffff                               // 00000000B00C: 8652FF52 00FFFFFF
	s_cmp_lt_u32 s82, s66                                      // 00000000B014: BF0A4252
	s_cselect_b32 s21, s36, s60                                // 00000000B018: 85153C24
	s_mov_b64 exec, s[20:21]                                   // 00000000B01C: BEFE0114
	global_atomic_add_f32 v6, v87, s[8:9] offset:8             // 00000000B020: DD348008 00085706
	global_atomic_add_f32 v6, v91, s[8:9] offset:264           // 00000000B028: DD348108 00085B06
	s_mov_b64 exec, s[36:37]                                   // 00000000B030: BEFE0124
	v_mov_b32_e32 v6, v58                                      // 00000000B034: 7E0C033A
	s_mov_b64 s[60:61], 0                                      // 00000000B038: BEBC0180
	v_readlane_b32 s82, v3, 12                                 // 00000000B03C: D2890052 00011903
	s_and_b32 s82, s82, 0xffffff                               // 00000000B044: 8652FF52 00FFFFFF
	s_cmp_lt_u32 s82, s66                                      // 00000000B04C: BF0A4252
	s_cselect_b32 s20, s36, s60                                // 00000000B050: 85143C24
	v_readlane_b32 s82, v3, 13                                 // 00000000B054: D2890052 00011B03
	s_and_b32 s82, s82, 0xffffff                               // 00000000B05C: 8652FF52 00FFFFFF
	s_cmp_lt_u32 s82, s66                                      // 00000000B064: BF0A4252
	s_cselect_b32 s21, s36, s60                                // 00000000B068: 85153C24
	s_mov_b64 exec, s[20:21]                                   // 00000000B06C: BEFE0114
	global_atomic_add_f32 v6, v94, s[8:9] offset:8             // 00000000B070: DD348008 00085E06
	global_atomic_add_f32 v6, v98, s[8:9] offset:264           // 00000000B078: DD348108 00086206
	s_mov_b64 exec, s[36:37]                                   // 00000000B080: BEFE0124
	v_mov_b32_e32 v6, v59                                      // 00000000B084: 7E0C033B
	s_mov_b64 s[60:61], 0                                      // 00000000B088: BEBC0180
	v_readlane_b32 s82, v3, 14                                 // 00000000B08C: D2890052 00011D03
	s_and_b32 s82, s82, 0xffffff                               // 00000000B094: 8652FF52 00FFFFFF
	s_cmp_lt_u32 s82, s66                                      // 00000000B09C: BF0A4252
	s_cselect_b32 s20, s36, s60                                // 00000000B0A0: 85143C24
	v_readlane_b32 s82, v3, 15                                 // 00000000B0A4: D2890052 00011F03
	s_and_b32 s82, s82, 0xffffff                               // 00000000B0AC: 8652FF52 00FFFFFF
	s_cmp_lt_u32 s82, s66                                      // 00000000B0B4: BF0A4252
	s_cselect_b32 s21, s36, s60                                // 00000000B0B8: 85153C24
	s_mov_b64 exec, s[20:21]                                   // 00000000B0BC: BEFE0114
	global_atomic_add_f32 v6, v95, s[8:9] offset:8             // 00000000B0C0: DD348008 00085F06
	global_atomic_add_f32 v6, v99, s[8:9] offset:264           // 00000000B0C8: DD348108 00086306
	s_mov_b64 exec, s[36:37]                                   // 00000000B0D0: BEFE0124
	v_mov_b32_e32 v6, v60                                      // 00000000B0D4: 7E0C033C
	s_mov_b64 s[60:61], 0                                      // 00000000B0D8: BEBC0180
	v_readlane_b32 s82, v3, 16                                 // 00000000B0DC: D2890052 00012103
	s_and_b32 s82, s82, 0xffffff                               // 00000000B0E4: 8652FF52 00FFFFFF
	s_cmp_lt_u32 s82, s66                                      // 00000000B0EC: BF0A4252
	s_cselect_b32 s20, s36, s60                                // 00000000B0F0: 85143C24
	v_readlane_b32 s82, v3, 17                                 // 00000000B0F4: D2890052 00012303
	s_and_b32 s82, s82, 0xffffff                               // 00000000B0FC: 8652FF52 00FFFFFF
	s_cmp_lt_u32 s82, s66                                      // 00000000B104: BF0A4252
	s_cselect_b32 s21, s36, s60                                // 00000000B108: 85153C24
	s_mov_b64 exec, s[20:21]                                   // 00000000B10C: BEFE0114
	global_atomic_add_f32 v6, v102, s[8:9] offset:8            // 00000000B110: DD348008 00086606
	global_atomic_add_f32 v6, v106, s[8:9] offset:264          // 00000000B118: DD348108 00086A06
	s_mov_b64 exec, s[36:37]                                   // 00000000B120: BEFE0124
	v_mov_b32_e32 v6, v61                                      // 00000000B124: 7E0C033D
	s_mov_b64 s[60:61], 0                                      // 00000000B128: BEBC0180
	v_readlane_b32 s82, v3, 18                                 // 00000000B12C: D2890052 00012503
	s_and_b32 s82, s82, 0xffffff                               // 00000000B134: 8652FF52 00FFFFFF
	s_cmp_lt_u32 s82, s66                                      // 00000000B13C: BF0A4252
	s_cselect_b32 s20, s36, s60                                // 00000000B140: 85143C24
	v_readlane_b32 s82, v3, 19                                 // 00000000B144: D2890052 00012703
	s_and_b32 s82, s82, 0xffffff                               // 00000000B14C: 8652FF52 00FFFFFF
	s_cmp_lt_u32 s82, s66                                      // 00000000B154: BF0A4252
	s_cselect_b32 s21, s36, s60                                // 00000000B158: 85153C24
	s_mov_b64 exec, s[20:21]                                   // 00000000B15C: BEFE0114
	global_atomic_add_f32 v6, v103, s[8:9] offset:8            // 00000000B160: DD348008 00086706
	global_atomic_add_f32 v6, v107, s[8:9] offset:264          // 00000000B168: DD348108 00086B06
	s_mov_b64 exec, s[36:37]                                   // 00000000B170: BEFE0124
	v_mov_b32_e32 v6, v62                                      // 00000000B174: 7E0C033E
	s_mov_b64 s[60:61], 0                                      // 00000000B178: BEBC0180
	v_readlane_b32 s82, v3, 20                                 // 00000000B17C: D2890052 00012903
	s_and_b32 s82, s82, 0xffffff                               // 00000000B184: 8652FF52 00FFFFFF
	s_cmp_lt_u32 s82, s66                                      // 00000000B18C: BF0A4252
	s_cselect_b32 s20, s36, s60                                // 00000000B190: 85143C24
	v_readlane_b32 s82, v3, 21                                 // 00000000B194: D2890052 00012B03
	s_and_b32 s82, s82, 0xffffff                               // 00000000B19C: 8652FF52 00FFFFFF
	s_cmp_lt_u32 s82, s66                                      // 00000000B1A4: BF0A4252
	s_cselect_b32 s21, s36, s60                                // 00000000B1A8: 85153C24
	s_mov_b64 exec, s[20:21]                                   // 00000000B1AC: BEFE0114
	global_atomic_add_f32 v6, v110, s[8:9] offset:8            // 00000000B1B0: DD348008 00086E06
	global_atomic_add_f32 v6, v114, s[8:9] offset:264          // 00000000B1B8: DD348108 00087206
	s_mov_b64 exec, s[36:37]                                   // 00000000B1C0: BEFE0124
	v_mov_b32_e32 v6, v63                                      // 00000000B1C4: 7E0C033F
	s_mov_b64 s[60:61], 0                                      // 00000000B1C8: BEBC0180
	v_readlane_b32 s82, v3, 22                                 // 00000000B1CC: D2890052 00012D03
	s_and_b32 s82, s82, 0xffffff                               // 00000000B1D4: 8652FF52 00FFFFFF
	s_cmp_lt_u32 s82, s66                                      // 00000000B1DC: BF0A4252
	s_cselect_b32 s20, s36, s60                                // 00000000B1E0: 85143C24
	v_readlane_b32 s82, v3, 23                                 // 00000000B1E4: D2890052 00012F03
	s_and_b32 s82, s82, 0xffffff                               // 00000000B1EC: 8652FF52 00FFFFFF
	s_cmp_lt_u32 s82, s66                                      // 00000000B1F4: BF0A4252
	s_cselect_b32 s21, s36, s60                                // 00000000B1F8: 85153C24
	s_mov_b64 exec, s[20:21]                                   // 00000000B1FC: BEFE0114
	global_atomic_add_f32 v6, v111, s[8:9] offset:8            // 00000000B200: DD348008 00086F06
	global_atomic_add_f32 v6, v115, s[8:9] offset:264          // 00000000B208: DD348108 00087306
	s_mov_b64 exec, s[36:37]                                   // 00000000B210: BEFE0124
	ds_write_b64 v20, v[116:117]                               // 00000000B214: D89A0000 00007414
	ds_write_b64 v20, v[120:121] offset:4352                   // 00000000B21C: D89A1100 00007814
	ds_write_b64 v20, v[124:125] offset:8704                   // 00000000B224: D89A2200 00007C14
	ds_write_b64 v20, v[128:129] offset:13056                  // 00000000B22C: D89A3300 00008014
	ds_write_b64 v20, v[132:133] offset:17408                  // 00000000B234: D89A4400 00008414
	ds_write_b64 v20, v[136:137] offset:21760                  // 00000000B23C: D89A5500 00008814
	ds_write_b64 v20, v[140:141] offset:2176                   // 00000000B244: D89A0880 00008C14
	ds_write_b64 v20, v[144:145] offset:6528                   // 00000000B24C: D89A1980 00009014
	ds_write_b64 v20, v[148:149] offset:10880                  // 00000000B254: D89A2A80 00009414
	ds_write_b64 v20, v[152:153] offset:15232                  // 00000000B25C: D89A3B80 00009814
	ds_write_b64 v20, v[156:157] offset:19584                  // 00000000B264: D89A4C80 00009C14
	ds_write_b64 v20, v[160:161] offset:23936                  // 00000000B26C: D89A5D80 0000A014
	s_waitcnt lgkmcnt(0)                                       // 00000000B274: BF8CC07F
	s_barrier                                                  // 00000000B278: BF8A0000
	ds_read_b32 v116, v21                                      // 00000000B27C: D86C0000 74000015
	ds_read_b32 v117, v21 offset:64                            // 00000000B284: D86C0040 75000015
	ds_read_b32 v120, v21 offset:2176                          // 00000000B28C: D86C0880 78000015
	ds_read_b32 v121, v21 offset:2240                          // 00000000B294: D86C08C0 79000015
	ds_read_b32 v124, v21 offset:4352                          // 00000000B29C: D86C1100 7C000015
	ds_read_b32 v125, v21 offset:4416                          // 00000000B2A4: D86C1140 7D000015
	ds_read_b32 v128, v21 offset:6528                          // 00000000B2AC: D86C1980 80000015
	ds_read_b32 v129, v21 offset:6592                          // 00000000B2B4: D86C19C0 81000015
	ds_read_b32 v132, v21 offset:8704                          // 00000000B2BC: D86C2200 84000015
	ds_read_b32 v133, v21 offset:8768                          // 00000000B2C4: D86C2240 85000015
	ds_read_b32 v136, v21 offset:10880                         // 00000000B2CC: D86C2A80 88000015
	ds_read_b32 v137, v21 offset:10944                         // 00000000B2D4: D86C2AC0 89000015
	ds_read_b32 v140, v21 offset:13056                         // 00000000B2DC: D86C3300 8C000015
	ds_read_b32 v141, v21 offset:13120                         // 00000000B2E4: D86C3340 8D000015
	ds_read_b32 v144, v21 offset:15232                         // 00000000B2EC: D86C3B80 90000015
	ds_read_b32 v145, v21 offset:15296                         // 00000000B2F4: D86C3BC0 91000015
	ds_read_b32 v148, v21 offset:17408                         // 00000000B2FC: D86C4400 94000015
	ds_read_b32 v149, v21 offset:17472                         // 00000000B304: D86C4440 95000015
	ds_read_b32 v152, v21 offset:19584                         // 00000000B30C: D86C4C80 98000015
	ds_read_b32 v153, v21 offset:19648                         // 00000000B314: D86C4CC0 99000015
	ds_read_b32 v156, v21 offset:21760                         // 00000000B31C: D86C5500 9C000015
	ds_read_b32 v157, v21 offset:21824                         // 00000000B324: D86C5540 9D000015
	ds_read_b32 v160, v21 offset:23936                         // 00000000B32C: D86C5D80 A0000015
	ds_read_b32 v161, v21 offset:24000                         // 00000000B334: D86C5DC0 A1000015
	s_mul_i32 s60, s65, 4                                      // 00000000B33C: 923C8441
	s_add_u32 s8, s60, s8                                      // 00000000B340: 8008083C
	s_addc_u32 s9, 0, s9                                       // 00000000B344: 82090980
	s_waitcnt lgkmcnt(0)                                       // 00000000B348: BF8CC07F
	v_mov_b32_e32 v7, 0                                        // 00000000B34C: 7E0E0280
	s_mov_b64 exec, s[36:37]                                   // 00000000B350: BEFE0124
	v_mov_b32_e32 v6, v52                                      // 00000000B354: 7E0C0334
	s_mov_b64 s[60:61], 0                                      // 00000000B358: BEBC0180
	v_readlane_b32 s82, v3, 0                                  // 00000000B35C: D2890052 00010103
	s_and_b32 s82, s82, 0xffffff                               // 00000000B364: 8652FF52 00FFFFFF
	s_cmp_lt_u32 s82, s66                                      // 00000000B36C: BF0A4252
	s_cselect_b32 s20, s36, s60                                // 00000000B370: 85143C24
	v_readlane_b32 s82, v3, 1                                  // 00000000B374: D2890052 00010303
	s_and_b32 s82, s82, 0xffffff                               // 00000000B37C: 8652FF52 00FFFFFF
	s_cmp_lt_u32 s82, s66                                      // 00000000B384: BF0A4252
	s_cselect_b32 s21, s36, s60                                // 00000000B388: 85153C24
	s_mov_b64 exec, s[20:21]                                   // 00000000B38C: BEFE0114
	global_atomic_add_f32 v6, v116, s[8:9]                     // 00000000B390: DD348000 00087406
	global_atomic_add_f32 v6, v120, s[8:9] offset:256          // 00000000B398: DD348100 00087806
	s_mov_b64 exec, s[36:37]                                   // 00000000B3A0: BEFE0124
	v_mov_b32_e32 v6, v53                                      // 00000000B3A4: 7E0C0335
	s_mov_b64 s[60:61], 0                                      // 00000000B3A8: BEBC0180
	v_readlane_b32 s82, v3, 2                                  // 00000000B3AC: D2890052 00010503
	s_and_b32 s82, s82, 0xffffff                               // 00000000B3B4: 8652FF52 00FFFFFF
	s_cmp_lt_u32 s82, s66                                      // 00000000B3BC: BF0A4252
	s_cselect_b32 s20, s36, s60                                // 00000000B3C0: 85143C24
	v_readlane_b32 s82, v3, 3                                  // 00000000B3C4: D2890052 00010703
	s_and_b32 s82, s82, 0xffffff                               // 00000000B3CC: 8652FF52 00FFFFFF
	s_cmp_lt_u32 s82, s66                                      // 00000000B3D4: BF0A4252
	s_cselect_b32 s21, s36, s60                                // 00000000B3D8: 85153C24
	s_mov_b64 exec, s[20:21]                                   // 00000000B3DC: BEFE0114
	global_atomic_add_f32 v6, v117, s[8:9]                     // 00000000B3E0: DD348000 00087506
	global_atomic_add_f32 v6, v121, s[8:9] offset:256          // 00000000B3E8: DD348100 00087906
	s_mov_b64 exec, s[36:37]                                   // 00000000B3F0: BEFE0124
	v_mov_b32_e32 v6, v54                                      // 00000000B3F4: 7E0C0336
	s_mov_b64 s[60:61], 0                                      // 00000000B3F8: BEBC0180
	v_readlane_b32 s82, v3, 4                                  // 00000000B3FC: D2890052 00010903
	s_and_b32 s82, s82, 0xffffff                               // 00000000B404: 8652FF52 00FFFFFF
	s_cmp_lt_u32 s82, s66                                      // 00000000B40C: BF0A4252
	s_cselect_b32 s20, s36, s60                                // 00000000B410: 85143C24
	v_readlane_b32 s82, v3, 5                                  // 00000000B414: D2890052 00010B03
	s_and_b32 s82, s82, 0xffffff                               // 00000000B41C: 8652FF52 00FFFFFF
	s_cmp_lt_u32 s82, s66                                      // 00000000B424: BF0A4252
	s_cselect_b32 s21, s36, s60                                // 00000000B428: 85153C24
	s_mov_b64 exec, s[20:21]                                   // 00000000B42C: BEFE0114
	global_atomic_add_f32 v6, v124, s[8:9]                     // 00000000B430: DD348000 00087C06
	global_atomic_add_f32 v6, v128, s[8:9] offset:256          // 00000000B438: DD348100 00088006
	s_mov_b64 exec, s[36:37]                                   // 00000000B440: BEFE0124
	v_mov_b32_e32 v6, v55                                      // 00000000B444: 7E0C0337
	s_mov_b64 s[60:61], 0                                      // 00000000B448: BEBC0180
	v_readlane_b32 s82, v3, 6                                  // 00000000B44C: D2890052 00010D03
	s_and_b32 s82, s82, 0xffffff                               // 00000000B454: 8652FF52 00FFFFFF
	s_cmp_lt_u32 s82, s66                                      // 00000000B45C: BF0A4252
	s_cselect_b32 s20, s36, s60                                // 00000000B460: 85143C24
	v_readlane_b32 s82, v3, 7                                  // 00000000B464: D2890052 00010F03
	s_and_b32 s82, s82, 0xffffff                               // 00000000B46C: 8652FF52 00FFFFFF
	s_cmp_lt_u32 s82, s66                                      // 00000000B474: BF0A4252
	s_cselect_b32 s21, s36, s60                                // 00000000B478: 85153C24
	s_mov_b64 exec, s[20:21]                                   // 00000000B47C: BEFE0114
	global_atomic_add_f32 v6, v125, s[8:9]                     // 00000000B480: DD348000 00087D06
	global_atomic_add_f32 v6, v129, s[8:9] offset:256          // 00000000B488: DD348100 00088106
	s_mov_b64 exec, s[36:37]                                   // 00000000B490: BEFE0124
	v_mov_b32_e32 v6, v56                                      // 00000000B494: 7E0C0338
	s_mov_b64 s[60:61], 0                                      // 00000000B498: BEBC0180
	v_readlane_b32 s82, v3, 8                                  // 00000000B49C: D2890052 00011103
	s_and_b32 s82, s82, 0xffffff                               // 00000000B4A4: 8652FF52 00FFFFFF
	s_cmp_lt_u32 s82, s66                                      // 00000000B4AC: BF0A4252
	s_cselect_b32 s20, s36, s60                                // 00000000B4B0: 85143C24
	v_readlane_b32 s82, v3, 9                                  // 00000000B4B4: D2890052 00011303
	s_and_b32 s82, s82, 0xffffff                               // 00000000B4BC: 8652FF52 00FFFFFF
	s_cmp_lt_u32 s82, s66                                      // 00000000B4C4: BF0A4252
	s_cselect_b32 s21, s36, s60                                // 00000000B4C8: 85153C24
	s_mov_b64 exec, s[20:21]                                   // 00000000B4CC: BEFE0114
	global_atomic_add_f32 v6, v132, s[8:9]                     // 00000000B4D0: DD348000 00088406
	global_atomic_add_f32 v6, v136, s[8:9] offset:256          // 00000000B4D8: DD348100 00088806
	s_mov_b64 exec, s[36:37]                                   // 00000000B4E0: BEFE0124
	v_mov_b32_e32 v6, v57                                      // 00000000B4E4: 7E0C0339
	s_mov_b64 s[60:61], 0                                      // 00000000B4E8: BEBC0180
	v_readlane_b32 s82, v3, 10                                 // 00000000B4EC: D2890052 00011503
	s_and_b32 s82, s82, 0xffffff                               // 00000000B4F4: 8652FF52 00FFFFFF
	s_cmp_lt_u32 s82, s66                                      // 00000000B4FC: BF0A4252
	s_cselect_b32 s20, s36, s60                                // 00000000B500: 85143C24
	v_readlane_b32 s82, v3, 11                                 // 00000000B504: D2890052 00011703
	s_and_b32 s82, s82, 0xffffff                               // 00000000B50C: 8652FF52 00FFFFFF
	s_cmp_lt_u32 s82, s66                                      // 00000000B514: BF0A4252
	s_cselect_b32 s21, s36, s60                                // 00000000B518: 85153C24
	s_mov_b64 exec, s[20:21]                                   // 00000000B51C: BEFE0114
	global_atomic_add_f32 v6, v133, s[8:9]                     // 00000000B520: DD348000 00088506
	global_atomic_add_f32 v6, v137, s[8:9] offset:256          // 00000000B528: DD348100 00088906
	s_mov_b64 exec, s[36:37]                                   // 00000000B530: BEFE0124
	v_mov_b32_e32 v6, v58                                      // 00000000B534: 7E0C033A
	s_mov_b64 s[60:61], 0                                      // 00000000B538: BEBC0180
	v_readlane_b32 s82, v3, 12                                 // 00000000B53C: D2890052 00011903
	s_and_b32 s82, s82, 0xffffff                               // 00000000B544: 8652FF52 00FFFFFF
	s_cmp_lt_u32 s82, s66                                      // 00000000B54C: BF0A4252
	s_cselect_b32 s20, s36, s60                                // 00000000B550: 85143C24
	v_readlane_b32 s82, v3, 13                                 // 00000000B554: D2890052 00011B03
	s_and_b32 s82, s82, 0xffffff                               // 00000000B55C: 8652FF52 00FFFFFF
	s_cmp_lt_u32 s82, s66                                      // 00000000B564: BF0A4252
	s_cselect_b32 s21, s36, s60                                // 00000000B568: 85153C24
	s_mov_b64 exec, s[20:21]                                   // 00000000B56C: BEFE0114
	global_atomic_add_f32 v6, v140, s[8:9]                     // 00000000B570: DD348000 00088C06
	global_atomic_add_f32 v6, v144, s[8:9] offset:256          // 00000000B578: DD348100 00089006
	s_mov_b64 exec, s[36:37]                                   // 00000000B580: BEFE0124
	v_mov_b32_e32 v6, v59                                      // 00000000B584: 7E0C033B
	s_mov_b64 s[60:61], 0                                      // 00000000B588: BEBC0180
	v_readlane_b32 s82, v3, 14                                 // 00000000B58C: D2890052 00011D03
	s_and_b32 s82, s82, 0xffffff                               // 00000000B594: 8652FF52 00FFFFFF
	s_cmp_lt_u32 s82, s66                                      // 00000000B59C: BF0A4252
	s_cselect_b32 s20, s36, s60                                // 00000000B5A0: 85143C24
	v_readlane_b32 s82, v3, 15                                 // 00000000B5A4: D2890052 00011F03
	s_and_b32 s82, s82, 0xffffff                               // 00000000B5AC: 8652FF52 00FFFFFF
	s_cmp_lt_u32 s82, s66                                      // 00000000B5B4: BF0A4252
	s_cselect_b32 s21, s36, s60                                // 00000000B5B8: 85153C24
	s_mov_b64 exec, s[20:21]                                   // 00000000B5BC: BEFE0114
	global_atomic_add_f32 v6, v141, s[8:9]                     // 00000000B5C0: DD348000 00088D06
	global_atomic_add_f32 v6, v145, s[8:9] offset:256          // 00000000B5C8: DD348100 00089106
	s_mov_b64 exec, s[36:37]                                   // 00000000B5D0: BEFE0124
	v_mov_b32_e32 v6, v60                                      // 00000000B5D4: 7E0C033C
	s_mov_b64 s[60:61], 0                                      // 00000000B5D8: BEBC0180
	v_readlane_b32 s82, v3, 16                                 // 00000000B5DC: D2890052 00012103
	s_and_b32 s82, s82, 0xffffff                               // 00000000B5E4: 8652FF52 00FFFFFF
	s_cmp_lt_u32 s82, s66                                      // 00000000B5EC: BF0A4252
	s_cselect_b32 s20, s36, s60                                // 00000000B5F0: 85143C24
	v_readlane_b32 s82, v3, 17                                 // 00000000B5F4: D2890052 00012303
	s_and_b32 s82, s82, 0xffffff                               // 00000000B5FC: 8652FF52 00FFFFFF
	s_cmp_lt_u32 s82, s66                                      // 00000000B604: BF0A4252
	s_cselect_b32 s21, s36, s60                                // 00000000B608: 85153C24
	s_mov_b64 exec, s[20:21]                                   // 00000000B60C: BEFE0114
	global_atomic_add_f32 v6, v148, s[8:9]                     // 00000000B610: DD348000 00089406
	global_atomic_add_f32 v6, v152, s[8:9] offset:256          // 00000000B618: DD348100 00089806
	s_mov_b64 exec, s[36:37]                                   // 00000000B620: BEFE0124
	v_mov_b32_e32 v6, v61                                      // 00000000B624: 7E0C033D
	s_mov_b64 s[60:61], 0                                      // 00000000B628: BEBC0180
	v_readlane_b32 s82, v3, 18                                 // 00000000B62C: D2890052 00012503
	s_and_b32 s82, s82, 0xffffff                               // 00000000B634: 8652FF52 00FFFFFF
	s_cmp_lt_u32 s82, s66                                      // 00000000B63C: BF0A4252
	s_cselect_b32 s20, s36, s60                                // 00000000B640: 85143C24
	v_readlane_b32 s82, v3, 19                                 // 00000000B644: D2890052 00012703
	s_and_b32 s82, s82, 0xffffff                               // 00000000B64C: 8652FF52 00FFFFFF
	s_cmp_lt_u32 s82, s66                                      // 00000000B654: BF0A4252
	s_cselect_b32 s21, s36, s60                                // 00000000B658: 85153C24
	s_mov_b64 exec, s[20:21]                                   // 00000000B65C: BEFE0114
	global_atomic_add_f32 v6, v149, s[8:9]                     // 00000000B660: DD348000 00089506
	global_atomic_add_f32 v6, v153, s[8:9] offset:256          // 00000000B668: DD348100 00089906
	s_mov_b64 exec, s[36:37]                                   // 00000000B670: BEFE0124
	v_mov_b32_e32 v6, v62                                      // 00000000B674: 7E0C033E
	s_mov_b64 s[60:61], 0                                      // 00000000B678: BEBC0180
	v_readlane_b32 s82, v3, 20                                 // 00000000B67C: D2890052 00012903
	s_and_b32 s82, s82, 0xffffff                               // 00000000B684: 8652FF52 00FFFFFF
	s_cmp_lt_u32 s82, s66                                      // 00000000B68C: BF0A4252
	s_cselect_b32 s20, s36, s60                                // 00000000B690: 85143C24
	v_readlane_b32 s82, v3, 21                                 // 00000000B694: D2890052 00012B03
	s_and_b32 s82, s82, 0xffffff                               // 00000000B69C: 8652FF52 00FFFFFF
	s_cmp_lt_u32 s82, s66                                      // 00000000B6A4: BF0A4252
	s_cselect_b32 s21, s36, s60                                // 00000000B6A8: 85153C24
	s_mov_b64 exec, s[20:21]                                   // 00000000B6AC: BEFE0114
	global_atomic_add_f32 v6, v156, s[8:9]                     // 00000000B6B0: DD348000 00089C06
	global_atomic_add_f32 v6, v160, s[8:9] offset:256          // 00000000B6B8: DD348100 0008A006
	s_mov_b64 exec, s[36:37]                                   // 00000000B6C0: BEFE0124
	v_mov_b32_e32 v6, v63                                      // 00000000B6C4: 7E0C033F
	s_mov_b64 s[60:61], 0                                      // 00000000B6C8: BEBC0180
	v_readlane_b32 s82, v3, 22                                 // 00000000B6CC: D2890052 00012D03
	s_and_b32 s82, s82, 0xffffff                               // 00000000B6D4: 8652FF52 00FFFFFF
	s_cmp_lt_u32 s82, s66                                      // 00000000B6DC: BF0A4252
	s_cselect_b32 s20, s36, s60                                // 00000000B6E0: 85143C24
	v_readlane_b32 s82, v3, 23                                 // 00000000B6E4: D2890052 00012F03
	s_and_b32 s82, s82, 0xffffff                               // 00000000B6EC: 8652FF52 00FFFFFF
	s_cmp_lt_u32 s82, s66                                      // 00000000B6F4: BF0A4252
	s_cselect_b32 s21, s36, s60                                // 00000000B6F8: 85153C24
	s_mov_b64 exec, s[20:21]                                   // 00000000B6FC: BEFE0114
	global_atomic_add_f32 v6, v157, s[8:9]                     // 00000000B700: DD348000 00089D06
	global_atomic_add_f32 v6, v161, s[8:9] offset:256          // 00000000B708: DD348100 0008A106
	s_mov_b64 exec, s[36:37]                                   // 00000000B710: BEFE0124
	ds_write_b64 v20, v[118:119]                               // 00000000B714: D89A0000 00007614
	ds_write_b64 v20, v[122:123] offset:4352                   // 00000000B71C: D89A1100 00007A14
	ds_write_b64 v20, v[126:127] offset:8704                   // 00000000B724: D89A2200 00007E14
	ds_write_b64 v20, v[130:131] offset:13056                  // 00000000B72C: D89A3300 00008214
	ds_write_b64 v20, v[134:135] offset:17408                  // 00000000B734: D89A4400 00008614
	ds_write_b64 v20, v[138:139] offset:21760                  // 00000000B73C: D89A5500 00008A14
	ds_write_b64 v20, v[142:143] offset:2176                   // 00000000B744: D89A0880 00008E14
	ds_write_b64 v20, v[146:147] offset:6528                   // 00000000B74C: D89A1980 00009214
	ds_write_b64 v20, v[150:151] offset:10880                  // 00000000B754: D89A2A80 00009614
	ds_write_b64 v20, v[154:155] offset:15232                  // 00000000B75C: D89A3B80 00009A14
	ds_write_b64 v20, v[158:159] offset:19584                  // 00000000B764: D89A4C80 00009E14
	ds_write_b64 v20, v[162:163] offset:23936                  // 00000000B76C: D89A5D80 0000A214
	s_waitcnt lgkmcnt(0)                                       // 00000000B774: BF8CC07F
	s_barrier                                                  // 00000000B778: BF8A0000
	ds_read_b32 v118, v21                                      // 00000000B77C: D86C0000 76000015
	ds_read_b32 v119, v21 offset:64                            // 00000000B784: D86C0040 77000015
	ds_read_b32 v122, v21 offset:2176                          // 00000000B78C: D86C0880 7A000015
	ds_read_b32 v123, v21 offset:2240                          // 00000000B794: D86C08C0 7B000015
	ds_read_b32 v126, v21 offset:4352                          // 00000000B79C: D86C1100 7E000015
	ds_read_b32 v127, v21 offset:4416                          // 00000000B7A4: D86C1140 7F000015
	ds_read_b32 v130, v21 offset:6528                          // 00000000B7AC: D86C1980 82000015
	ds_read_b32 v131, v21 offset:6592                          // 00000000B7B4: D86C19C0 83000015
	ds_read_b32 v134, v21 offset:8704                          // 00000000B7BC: D86C2200 86000015
	ds_read_b32 v135, v21 offset:8768                          // 00000000B7C4: D86C2240 87000015
	ds_read_b32 v138, v21 offset:10880                         // 00000000B7CC: D86C2A80 8A000015
	ds_read_b32 v139, v21 offset:10944                         // 00000000B7D4: D86C2AC0 8B000015
	ds_read_b32 v142, v21 offset:13056                         // 00000000B7DC: D86C3300 8E000015
	ds_read_b32 v143, v21 offset:13120                         // 00000000B7E4: D86C3340 8F000015
	ds_read_b32 v146, v21 offset:15232                         // 00000000B7EC: D86C3B80 92000015
	ds_read_b32 v147, v21 offset:15296                         // 00000000B7F4: D86C3BC0 93000015
	ds_read_b32 v150, v21 offset:17408                         // 00000000B7FC: D86C4400 96000015
	ds_read_b32 v151, v21 offset:17472                         // 00000000B804: D86C4440 97000015
	ds_read_b32 v154, v21 offset:19584                         // 00000000B80C: D86C4C80 9A000015
	ds_read_b32 v155, v21 offset:19648                         // 00000000B814: D86C4CC0 9B000015
	ds_read_b32 v158, v21 offset:21760                         // 00000000B81C: D86C5500 9E000015
	ds_read_b32 v159, v21 offset:21824                         // 00000000B824: D86C5540 9F000015
	ds_read_b32 v162, v21 offset:23936                         // 00000000B82C: D86C5D80 A2000015
	ds_read_b32 v163, v21 offset:24000                         // 00000000B834: D86C5DC0 A3000015
	s_waitcnt lgkmcnt(0)                                       // 00000000B83C: BF8CC07F
	v_mov_b32_e32 v7, 0                                        // 00000000B840: 7E0E0280
	s_mov_b64 exec, s[36:37]                                   // 00000000B844: BEFE0124
	v_mov_b32_e32 v6, v52                                      // 00000000B848: 7E0C0334
	s_mov_b64 s[60:61], 0                                      // 00000000B84C: BEBC0180
	v_readlane_b32 s82, v3, 0                                  // 00000000B850: D2890052 00010103
	s_and_b32 s82, s82, 0xffffff                               // 00000000B858: 8652FF52 00FFFFFF
	s_cmp_lt_u32 s82, s66                                      // 00000000B860: BF0A4252
	s_cselect_b32 s20, s36, s60                                // 00000000B864: 85143C24
	v_readlane_b32 s82, v3, 1                                  // 00000000B868: D2890052 00010303
	s_and_b32 s82, s82, 0xffffff                               // 00000000B870: 8652FF52 00FFFFFF
	s_cmp_lt_u32 s82, s66                                      // 00000000B878: BF0A4252
	s_cselect_b32 s21, s36, s60                                // 00000000B87C: 85153C24
	s_mov_b64 exec, s[20:21]                                   // 00000000B880: BEFE0114
	global_atomic_add_f32 v6, v118, s[8:9] offset:8            // 00000000B884: DD348008 00087606
	global_atomic_add_f32 v6, v122, s[8:9] offset:264          // 00000000B88C: DD348108 00087A06
	s_mov_b64 exec, s[36:37]                                   // 00000000B894: BEFE0124
	v_mov_b32_e32 v6, v53                                      // 00000000B898: 7E0C0335
	s_mov_b64 s[60:61], 0                                      // 00000000B89C: BEBC0180
	v_readlane_b32 s82, v3, 2                                  // 00000000B8A0: D2890052 00010503
	s_and_b32 s82, s82, 0xffffff                               // 00000000B8A8: 8652FF52 00FFFFFF
	s_cmp_lt_u32 s82, s66                                      // 00000000B8B0: BF0A4252
	s_cselect_b32 s20, s36, s60                                // 00000000B8B4: 85143C24
	v_readlane_b32 s82, v3, 3                                  // 00000000B8B8: D2890052 00010703
	s_and_b32 s82, s82, 0xffffff                               // 00000000B8C0: 8652FF52 00FFFFFF
	s_cmp_lt_u32 s82, s66                                      // 00000000B8C8: BF0A4252
	s_cselect_b32 s21, s36, s60                                // 00000000B8CC: 85153C24
	s_mov_b64 exec, s[20:21]                                   // 00000000B8D0: BEFE0114
	global_atomic_add_f32 v6, v119, s[8:9] offset:8            // 00000000B8D4: DD348008 00087706
	global_atomic_add_f32 v6, v123, s[8:9] offset:264          // 00000000B8DC: DD348108 00087B06
	s_mov_b64 exec, s[36:37]                                   // 00000000B8E4: BEFE0124
	v_mov_b32_e32 v6, v54                                      // 00000000B8E8: 7E0C0336
	s_mov_b64 s[60:61], 0                                      // 00000000B8EC: BEBC0180
	v_readlane_b32 s82, v3, 4                                  // 00000000B8F0: D2890052 00010903
	s_and_b32 s82, s82, 0xffffff                               // 00000000B8F8: 8652FF52 00FFFFFF
	s_cmp_lt_u32 s82, s66                                      // 00000000B900: BF0A4252
	s_cselect_b32 s20, s36, s60                                // 00000000B904: 85143C24
	v_readlane_b32 s82, v3, 5                                  // 00000000B908: D2890052 00010B03
	s_and_b32 s82, s82, 0xffffff                               // 00000000B910: 8652FF52 00FFFFFF
	s_cmp_lt_u32 s82, s66                                      // 00000000B918: BF0A4252
	s_cselect_b32 s21, s36, s60                                // 00000000B91C: 85153C24
	s_mov_b64 exec, s[20:21]                                   // 00000000B920: BEFE0114
	global_atomic_add_f32 v6, v126, s[8:9] offset:8            // 00000000B924: DD348008 00087E06
	global_atomic_add_f32 v6, v130, s[8:9] offset:264          // 00000000B92C: DD348108 00088206
	s_mov_b64 exec, s[36:37]                                   // 00000000B934: BEFE0124
	v_mov_b32_e32 v6, v55                                      // 00000000B938: 7E0C0337
	s_mov_b64 s[60:61], 0                                      // 00000000B93C: BEBC0180
	v_readlane_b32 s82, v3, 6                                  // 00000000B940: D2890052 00010D03
	s_and_b32 s82, s82, 0xffffff                               // 00000000B948: 8652FF52 00FFFFFF
	s_cmp_lt_u32 s82, s66                                      // 00000000B950: BF0A4252
	s_cselect_b32 s20, s36, s60                                // 00000000B954: 85143C24
	v_readlane_b32 s82, v3, 7                                  // 00000000B958: D2890052 00010F03
	s_and_b32 s82, s82, 0xffffff                               // 00000000B960: 8652FF52 00FFFFFF
	s_cmp_lt_u32 s82, s66                                      // 00000000B968: BF0A4252
	s_cselect_b32 s21, s36, s60                                // 00000000B96C: 85153C24
	s_mov_b64 exec, s[20:21]                                   // 00000000B970: BEFE0114
	global_atomic_add_f32 v6, v127, s[8:9] offset:8            // 00000000B974: DD348008 00087F06
	global_atomic_add_f32 v6, v131, s[8:9] offset:264          // 00000000B97C: DD348108 00088306
	s_mov_b64 exec, s[36:37]                                   // 00000000B984: BEFE0124
	v_mov_b32_e32 v6, v56                                      // 00000000B988: 7E0C0338
	s_mov_b64 s[60:61], 0                                      // 00000000B98C: BEBC0180
	v_readlane_b32 s82, v3, 8                                  // 00000000B990: D2890052 00011103
	s_and_b32 s82, s82, 0xffffff                               // 00000000B998: 8652FF52 00FFFFFF
	s_cmp_lt_u32 s82, s66                                      // 00000000B9A0: BF0A4252
	s_cselect_b32 s20, s36, s60                                // 00000000B9A4: 85143C24
	v_readlane_b32 s82, v3, 9                                  // 00000000B9A8: D2890052 00011303
	s_and_b32 s82, s82, 0xffffff                               // 00000000B9B0: 8652FF52 00FFFFFF
	s_cmp_lt_u32 s82, s66                                      // 00000000B9B8: BF0A4252
	s_cselect_b32 s21, s36, s60                                // 00000000B9BC: 85153C24
	s_mov_b64 exec, s[20:21]                                   // 00000000B9C0: BEFE0114
	global_atomic_add_f32 v6, v134, s[8:9] offset:8            // 00000000B9C4: DD348008 00088606
	global_atomic_add_f32 v6, v138, s[8:9] offset:264          // 00000000B9CC: DD348108 00088A06
	s_mov_b64 exec, s[36:37]                                   // 00000000B9D4: BEFE0124
	v_mov_b32_e32 v6, v57                                      // 00000000B9D8: 7E0C0339
	s_mov_b64 s[60:61], 0                                      // 00000000B9DC: BEBC0180
	v_readlane_b32 s82, v3, 10                                 // 00000000B9E0: D2890052 00011503
	s_and_b32 s82, s82, 0xffffff                               // 00000000B9E8: 8652FF52 00FFFFFF
	s_cmp_lt_u32 s82, s66                                      // 00000000B9F0: BF0A4252
	s_cselect_b32 s20, s36, s60                                // 00000000B9F4: 85143C24
	v_readlane_b32 s82, v3, 11                                 // 00000000B9F8: D2890052 00011703
	s_and_b32 s82, s82, 0xffffff                               // 00000000BA00: 8652FF52 00FFFFFF
	s_cmp_lt_u32 s82, s66                                      // 00000000BA08: BF0A4252
	s_cselect_b32 s21, s36, s60                                // 00000000BA0C: 85153C24
	s_mov_b64 exec, s[20:21]                                   // 00000000BA10: BEFE0114
	global_atomic_add_f32 v6, v135, s[8:9] offset:8            // 00000000BA14: DD348008 00088706
	global_atomic_add_f32 v6, v139, s[8:9] offset:264          // 00000000BA1C: DD348108 00088B06
	s_mov_b64 exec, s[36:37]                                   // 00000000BA24: BEFE0124
	v_mov_b32_e32 v6, v58                                      // 00000000BA28: 7E0C033A
	s_mov_b64 s[60:61], 0                                      // 00000000BA2C: BEBC0180
	v_readlane_b32 s82, v3, 12                                 // 00000000BA30: D2890052 00011903
	s_and_b32 s82, s82, 0xffffff                               // 00000000BA38: 8652FF52 00FFFFFF
	s_cmp_lt_u32 s82, s66                                      // 00000000BA40: BF0A4252
	s_cselect_b32 s20, s36, s60                                // 00000000BA44: 85143C24
	v_readlane_b32 s82, v3, 13                                 // 00000000BA48: D2890052 00011B03
	s_and_b32 s82, s82, 0xffffff                               // 00000000BA50: 8652FF52 00FFFFFF
	s_cmp_lt_u32 s82, s66                                      // 00000000BA58: BF0A4252
	s_cselect_b32 s21, s36, s60                                // 00000000BA5C: 85153C24
	s_mov_b64 exec, s[20:21]                                   // 00000000BA60: BEFE0114
	global_atomic_add_f32 v6, v142, s[8:9] offset:8            // 00000000BA64: DD348008 00088E06
	global_atomic_add_f32 v6, v146, s[8:9] offset:264          // 00000000BA6C: DD348108 00089206
	s_mov_b64 exec, s[36:37]                                   // 00000000BA74: BEFE0124
	v_mov_b32_e32 v6, v59                                      // 00000000BA78: 7E0C033B
	s_mov_b64 s[60:61], 0                                      // 00000000BA7C: BEBC0180
	v_readlane_b32 s82, v3, 14                                 // 00000000BA80: D2890052 00011D03
	s_and_b32 s82, s82, 0xffffff                               // 00000000BA88: 8652FF52 00FFFFFF
	s_cmp_lt_u32 s82, s66                                      // 00000000BA90: BF0A4252
	s_cselect_b32 s20, s36, s60                                // 00000000BA94: 85143C24
	v_readlane_b32 s82, v3, 15                                 // 00000000BA98: D2890052 00011F03
	s_and_b32 s82, s82, 0xffffff                               // 00000000BAA0: 8652FF52 00FFFFFF
	s_cmp_lt_u32 s82, s66                                      // 00000000BAA8: BF0A4252
	s_cselect_b32 s21, s36, s60                                // 00000000BAAC: 85153C24
	s_mov_b64 exec, s[20:21]                                   // 00000000BAB0: BEFE0114
	global_atomic_add_f32 v6, v143, s[8:9] offset:8            // 00000000BAB4: DD348008 00088F06
	global_atomic_add_f32 v6, v147, s[8:9] offset:264          // 00000000BABC: DD348108 00089306
	s_mov_b64 exec, s[36:37]                                   // 00000000BAC4: BEFE0124
	v_mov_b32_e32 v6, v60                                      // 00000000BAC8: 7E0C033C
	s_mov_b64 s[60:61], 0                                      // 00000000BACC: BEBC0180
	v_readlane_b32 s82, v3, 16                                 // 00000000BAD0: D2890052 00012103
	s_and_b32 s82, s82, 0xffffff                               // 00000000BAD8: 8652FF52 00FFFFFF
	s_cmp_lt_u32 s82, s66                                      // 00000000BAE0: BF0A4252
	s_cselect_b32 s20, s36, s60                                // 00000000BAE4: 85143C24
	v_readlane_b32 s82, v3, 17                                 // 00000000BAE8: D2890052 00012303
	s_and_b32 s82, s82, 0xffffff                               // 00000000BAF0: 8652FF52 00FFFFFF
	s_cmp_lt_u32 s82, s66                                      // 00000000BAF8: BF0A4252
	s_cselect_b32 s21, s36, s60                                // 00000000BAFC: 85153C24
	s_mov_b64 exec, s[20:21]                                   // 00000000BB00: BEFE0114
	global_atomic_add_f32 v6, v150, s[8:9] offset:8            // 00000000BB04: DD348008 00089606
	global_atomic_add_f32 v6, v154, s[8:9] offset:264          // 00000000BB0C: DD348108 00089A06
	s_mov_b64 exec, s[36:37]                                   // 00000000BB14: BEFE0124
	v_mov_b32_e32 v6, v61                                      // 00000000BB18: 7E0C033D
	s_mov_b64 s[60:61], 0                                      // 00000000BB1C: BEBC0180
	v_readlane_b32 s82, v3, 18                                 // 00000000BB20: D2890052 00012503
	s_and_b32 s82, s82, 0xffffff                               // 00000000BB28: 8652FF52 00FFFFFF
	s_cmp_lt_u32 s82, s66                                      // 00000000BB30: BF0A4252
	s_cselect_b32 s20, s36, s60                                // 00000000BB34: 85143C24
	v_readlane_b32 s82, v3, 19                                 // 00000000BB38: D2890052 00012703
	s_and_b32 s82, s82, 0xffffff                               // 00000000BB40: 8652FF52 00FFFFFF
	s_cmp_lt_u32 s82, s66                                      // 00000000BB48: BF0A4252
	s_cselect_b32 s21, s36, s60                                // 00000000BB4C: 85153C24
	s_mov_b64 exec, s[20:21]                                   // 00000000BB50: BEFE0114
	global_atomic_add_f32 v6, v151, s[8:9] offset:8            // 00000000BB54: DD348008 00089706
	global_atomic_add_f32 v6, v155, s[8:9] offset:264          // 00000000BB5C: DD348108 00089B06
	s_mov_b64 exec, s[36:37]                                   // 00000000BB64: BEFE0124
	v_mov_b32_e32 v6, v62                                      // 00000000BB68: 7E0C033E
	s_mov_b64 s[60:61], 0                                      // 00000000BB6C: BEBC0180
	v_readlane_b32 s82, v3, 20                                 // 00000000BB70: D2890052 00012903
	s_and_b32 s82, s82, 0xffffff                               // 00000000BB78: 8652FF52 00FFFFFF
	s_cmp_lt_u32 s82, s66                                      // 00000000BB80: BF0A4252
	s_cselect_b32 s20, s36, s60                                // 00000000BB84: 85143C24
	v_readlane_b32 s82, v3, 21                                 // 00000000BB88: D2890052 00012B03
	s_and_b32 s82, s82, 0xffffff                               // 00000000BB90: 8652FF52 00FFFFFF
	s_cmp_lt_u32 s82, s66                                      // 00000000BB98: BF0A4252
	s_cselect_b32 s21, s36, s60                                // 00000000BB9C: 85153C24
	s_mov_b64 exec, s[20:21]                                   // 00000000BBA0: BEFE0114
	global_atomic_add_f32 v6, v158, s[8:9] offset:8            // 00000000BBA4: DD348008 00089E06
	global_atomic_add_f32 v6, v162, s[8:9] offset:264          // 00000000BBAC: DD348108 0008A206
	s_mov_b64 exec, s[36:37]                                   // 00000000BBB4: BEFE0124
	v_mov_b32_e32 v6, v63                                      // 00000000BBB8: 7E0C033F
	s_mov_b64 s[60:61], 0                                      // 00000000BBBC: BEBC0180
	v_readlane_b32 s82, v3, 22                                 // 00000000BBC0: D2890052 00012D03
	s_and_b32 s82, s82, 0xffffff                               // 00000000BBC8: 8652FF52 00FFFFFF
	s_cmp_lt_u32 s82, s66                                      // 00000000BBD0: BF0A4252
	s_cselect_b32 s20, s36, s60                                // 00000000BBD4: 85143C24
	v_readlane_b32 s82, v3, 23                                 // 00000000BBD8: D2890052 00012F03
	s_and_b32 s82, s82, 0xffffff                               // 00000000BBE0: 8652FF52 00FFFFFF
	s_cmp_lt_u32 s82, s66                                      // 00000000BBE8: BF0A4252
	s_cselect_b32 s21, s36, s60                                // 00000000BBEC: 85153C24
	s_mov_b64 exec, s[20:21]                                   // 00000000BBF0: BEFE0114
	global_atomic_add_f32 v6, v159, s[8:9] offset:8            // 00000000BBF4: DD348008 00089F06
	global_atomic_add_f32 v6, v163, s[8:9] offset:264          // 00000000BBFC: DD348108 0008A306
	s_mov_b64 exec, s[36:37]                                   // 00000000BC04: BEFE0124
	s_branch label_2486                                        // 00000000BC08: BF820000

000000000000bc0c <label_2486>:
	s_waitcnt vmcnt(0) expcnt(0) lgkmcnt(0)                    // 00000000BC0C: BF8C0000
	s_endpgm                                                   // 00000000BC10: BF810000
